;; amdgpu-corpus repo=ROCm/composable_kernel kind=compiled arch=gfx1201 opt=O3
	.amdgcn_target "amdgcn-amd-amdhsa--gfx1201"
	.amdhsa_code_object_version 6
	.section	.text._ZN2ckL12flush_icacheEv,"axG",@progbits,_ZN2ckL12flush_icacheEv,comdat
	.globl	_ZN2ckL12flush_icacheEv         ; -- Begin function _ZN2ckL12flush_icacheEv
	.p2align	8
	.type	_ZN2ckL12flush_icacheEv,@function
_ZN2ckL12flush_icacheEv:                ; @_ZN2ckL12flush_icacheEv
; %bb.0:
	;;#ASMSTART
	s_icache_inv 
	s_nop 0 
	s_nop 0 
	;; [unrolled: 1-line block ×16, first 2 shown]
	
	;;#ASMEND
	s_endpgm
	.section	.rodata,"a",@progbits
	.p2align	6, 0x0
	.amdhsa_kernel _ZN2ckL12flush_icacheEv
		.amdhsa_group_segment_fixed_size 0
		.amdhsa_private_segment_fixed_size 0
		.amdhsa_kernarg_size 0
		.amdhsa_user_sgpr_count 0
		.amdhsa_user_sgpr_dispatch_ptr 0
		.amdhsa_user_sgpr_queue_ptr 0
		.amdhsa_user_sgpr_kernarg_segment_ptr 0
		.amdhsa_user_sgpr_dispatch_id 0
		.amdhsa_user_sgpr_private_segment_size 0
		.amdhsa_wavefront_size32 1
		.amdhsa_uses_dynamic_stack 0
		.amdhsa_enable_private_segment 0
		.amdhsa_system_sgpr_workgroup_id_x 1
		.amdhsa_system_sgpr_workgroup_id_y 0
		.amdhsa_system_sgpr_workgroup_id_z 0
		.amdhsa_system_sgpr_workgroup_info 0
		.amdhsa_system_vgpr_workitem_id 0
		.amdhsa_next_free_vgpr 1
		.amdhsa_next_free_sgpr 1
		.amdhsa_reserve_vcc 0
		.amdhsa_float_round_mode_32 0
		.amdhsa_float_round_mode_16_64 0
		.amdhsa_float_denorm_mode_32 3
		.amdhsa_float_denorm_mode_16_64 3
		.amdhsa_fp16_overflow 0
		.amdhsa_workgroup_processor_mode 1
		.amdhsa_memory_ordered 1
		.amdhsa_forward_progress 1
		.amdhsa_inst_pref_size 1
		.amdhsa_round_robin_scheduling 0
		.amdhsa_exception_fp_ieee_invalid_op 0
		.amdhsa_exception_fp_denorm_src 0
		.amdhsa_exception_fp_ieee_div_zero 0
		.amdhsa_exception_fp_ieee_overflow 0
		.amdhsa_exception_fp_ieee_underflow 0
		.amdhsa_exception_fp_ieee_inexact 0
		.amdhsa_exception_int_div_zero 0
	.end_amdhsa_kernel
	.section	.text._ZN2ckL12flush_icacheEv,"axG",@progbits,_ZN2ckL12flush_icacheEv,comdat
.Lfunc_end0:
	.size	_ZN2ckL12flush_icacheEv, .Lfunc_end0-_ZN2ckL12flush_icacheEv
                                        ; -- End function
	.set _ZN2ckL12flush_icacheEv.num_vgpr, 0
	.set _ZN2ckL12flush_icacheEv.num_agpr, 0
	.set _ZN2ckL12flush_icacheEv.numbered_sgpr, 0
	.set _ZN2ckL12flush_icacheEv.num_named_barrier, 0
	.set _ZN2ckL12flush_icacheEv.private_seg_size, 0
	.set _ZN2ckL12flush_icacheEv.uses_vcc, 0
	.set _ZN2ckL12flush_icacheEv.uses_flat_scratch, 0
	.set _ZN2ckL12flush_icacheEv.has_dyn_sized_stack, 0
	.set _ZN2ckL12flush_icacheEv.has_recursion, 0
	.set _ZN2ckL12flush_icacheEv.has_indirect_call, 0
	.section	.AMDGPU.csdata,"",@progbits
; Kernel info:
; codeLenInByte = 4
; TotalNumSgprs: 0
; NumVgprs: 0
; ScratchSize: 0
; MemoryBound: 0
; FloatMode: 240
; IeeeMode: 1
; LDSByteSize: 0 bytes/workgroup (compile time only)
; SGPRBlocks: 0
; VGPRBlocks: 0
; NumSGPRsForWavesPerEU: 1
; NumVGPRsForWavesPerEU: 1
; Occupancy: 16
; WaveLimiterHint : 0
; COMPUTE_PGM_RSRC2:SCRATCH_EN: 0
; COMPUTE_PGM_RSRC2:USER_SGPR: 0
; COMPUTE_PGM_RSRC2:TRAP_HANDLER: 0
; COMPUTE_PGM_RSRC2:TGID_X_EN: 1
; COMPUTE_PGM_RSRC2:TGID_Y_EN: 0
; COMPUTE_PGM_RSRC2:TGID_Z_EN: 0
; COMPUTE_PGM_RSRC2:TIDIG_COMP_CNT: 0
	.section	.text._ZN2ck27kernel_gemm_xdl_cshuffle_v1INS_43GridwiseGemm_k0mk1_k0nk1_mn_xdl_cshuffle_v1INS_13tensor_layout4gemm8RowMajorES4_S4_DF16_DF16_fDF16_DF16_NS_16tensor_operation12element_wise11PassThroughES7_S7_LNS5_6device18GemmSpecializationE0ELNS_25InMemoryDataOperationEnumE0ELi1ELi256ELi256ELi128ELi32ELi8ELi2ELi16ELi16ELi8ELi4ENS_8SequenceIJLi4ELi64ELi1EEEENSB_IJLi1ELi0ELi2EEEESD_Li2ELi8ELi8ELb0ELi1ENSB_IJLi8ELi32ELi1EEEENSB_IJLi0ELi2ELi1EEEESF_Li1ELi4ELi2ELb0ELi0ELi1ELi2ENSB_IJLi1ELi16ELi1ELi16EEEELi4ELNS_13LoopSchedulerE1ELNS_15PipelineVersionE0EDF16_DF16_EELb1EEEvNT_8ArgumentE,"axG",@progbits,_ZN2ck27kernel_gemm_xdl_cshuffle_v1INS_43GridwiseGemm_k0mk1_k0nk1_mn_xdl_cshuffle_v1INS_13tensor_layout4gemm8RowMajorES4_S4_DF16_DF16_fDF16_DF16_NS_16tensor_operation12element_wise11PassThroughES7_S7_LNS5_6device18GemmSpecializationE0ELNS_25InMemoryDataOperationEnumE0ELi1ELi256ELi256ELi128ELi32ELi8ELi2ELi16ELi16ELi8ELi4ENS_8SequenceIJLi4ELi64ELi1EEEENSB_IJLi1ELi0ELi2EEEESD_Li2ELi8ELi8ELb0ELi1ENSB_IJLi8ELi32ELi1EEEENSB_IJLi0ELi2ELi1EEEESF_Li1ELi4ELi2ELb0ELi0ELi1ELi2ENSB_IJLi1ELi16ELi1ELi16EEEELi4ELNS_13LoopSchedulerE1ELNS_15PipelineVersionE0EDF16_DF16_EELb1EEEvNT_8ArgumentE,comdat
	.protected	_ZN2ck27kernel_gemm_xdl_cshuffle_v1INS_43GridwiseGemm_k0mk1_k0nk1_mn_xdl_cshuffle_v1INS_13tensor_layout4gemm8RowMajorES4_S4_DF16_DF16_fDF16_DF16_NS_16tensor_operation12element_wise11PassThroughES7_S7_LNS5_6device18GemmSpecializationE0ELNS_25InMemoryDataOperationEnumE0ELi1ELi256ELi256ELi128ELi32ELi8ELi2ELi16ELi16ELi8ELi4ENS_8SequenceIJLi4ELi64ELi1EEEENSB_IJLi1ELi0ELi2EEEESD_Li2ELi8ELi8ELb0ELi1ENSB_IJLi8ELi32ELi1EEEENSB_IJLi0ELi2ELi1EEEESF_Li1ELi4ELi2ELb0ELi0ELi1ELi2ENSB_IJLi1ELi16ELi1ELi16EEEELi4ELNS_13LoopSchedulerE1ELNS_15PipelineVersionE0EDF16_DF16_EELb1EEEvNT_8ArgumentE ; -- Begin function _ZN2ck27kernel_gemm_xdl_cshuffle_v1INS_43GridwiseGemm_k0mk1_k0nk1_mn_xdl_cshuffle_v1INS_13tensor_layout4gemm8RowMajorES4_S4_DF16_DF16_fDF16_DF16_NS_16tensor_operation12element_wise11PassThroughES7_S7_LNS5_6device18GemmSpecializationE0ELNS_25InMemoryDataOperationEnumE0ELi1ELi256ELi256ELi128ELi32ELi8ELi2ELi16ELi16ELi8ELi4ENS_8SequenceIJLi4ELi64ELi1EEEENSB_IJLi1ELi0ELi2EEEESD_Li2ELi8ELi8ELb0ELi1ENSB_IJLi8ELi32ELi1EEEENSB_IJLi0ELi2ELi1EEEESF_Li1ELi4ELi2ELb0ELi0ELi1ELi2ENSB_IJLi1ELi16ELi1ELi16EEEELi4ELNS_13LoopSchedulerE1ELNS_15PipelineVersionE0EDF16_DF16_EELb1EEEvNT_8ArgumentE
	.globl	_ZN2ck27kernel_gemm_xdl_cshuffle_v1INS_43GridwiseGemm_k0mk1_k0nk1_mn_xdl_cshuffle_v1INS_13tensor_layout4gemm8RowMajorES4_S4_DF16_DF16_fDF16_DF16_NS_16tensor_operation12element_wise11PassThroughES7_S7_LNS5_6device18GemmSpecializationE0ELNS_25InMemoryDataOperationEnumE0ELi1ELi256ELi256ELi128ELi32ELi8ELi2ELi16ELi16ELi8ELi4ENS_8SequenceIJLi4ELi64ELi1EEEENSB_IJLi1ELi0ELi2EEEESD_Li2ELi8ELi8ELb0ELi1ENSB_IJLi8ELi32ELi1EEEENSB_IJLi0ELi2ELi1EEEESF_Li1ELi4ELi2ELb0ELi0ELi1ELi2ENSB_IJLi1ELi16ELi1ELi16EEEELi4ELNS_13LoopSchedulerE1ELNS_15PipelineVersionE0EDF16_DF16_EELb1EEEvNT_8ArgumentE
	.p2align	8
	.type	_ZN2ck27kernel_gemm_xdl_cshuffle_v1INS_43GridwiseGemm_k0mk1_k0nk1_mn_xdl_cshuffle_v1INS_13tensor_layout4gemm8RowMajorES4_S4_DF16_DF16_fDF16_DF16_NS_16tensor_operation12element_wise11PassThroughES7_S7_LNS5_6device18GemmSpecializationE0ELNS_25InMemoryDataOperationEnumE0ELi1ELi256ELi256ELi128ELi32ELi8ELi2ELi16ELi16ELi8ELi4ENS_8SequenceIJLi4ELi64ELi1EEEENSB_IJLi1ELi0ELi2EEEESD_Li2ELi8ELi8ELb0ELi1ENSB_IJLi8ELi32ELi1EEEENSB_IJLi0ELi2ELi1EEEESF_Li1ELi4ELi2ELb0ELi0ELi1ELi2ENSB_IJLi1ELi16ELi1ELi16EEEELi4ELNS_13LoopSchedulerE1ELNS_15PipelineVersionE0EDF16_DF16_EELb1EEEvNT_8ArgumentE,@function
_ZN2ck27kernel_gemm_xdl_cshuffle_v1INS_43GridwiseGemm_k0mk1_k0nk1_mn_xdl_cshuffle_v1INS_13tensor_layout4gemm8RowMajorES4_S4_DF16_DF16_fDF16_DF16_NS_16tensor_operation12element_wise11PassThroughES7_S7_LNS5_6device18GemmSpecializationE0ELNS_25InMemoryDataOperationEnumE0ELi1ELi256ELi256ELi128ELi32ELi8ELi2ELi16ELi16ELi8ELi4ENS_8SequenceIJLi4ELi64ELi1EEEENSB_IJLi1ELi0ELi2EEEESD_Li2ELi8ELi8ELb0ELi1ENSB_IJLi8ELi32ELi1EEEENSB_IJLi0ELi2ELi1EEEESF_Li1ELi4ELi2ELb0ELi0ELi1ELi2ENSB_IJLi1ELi16ELi1ELi16EEEELi4ELNS_13LoopSchedulerE1ELNS_15PipelineVersionE0EDF16_DF16_EELb1EEEvNT_8ArgumentE: ; @_ZN2ck27kernel_gemm_xdl_cshuffle_v1INS_43GridwiseGemm_k0mk1_k0nk1_mn_xdl_cshuffle_v1INS_13tensor_layout4gemm8RowMajorES4_S4_DF16_DF16_fDF16_DF16_NS_16tensor_operation12element_wise11PassThroughES7_S7_LNS5_6device18GemmSpecializationE0ELNS_25InMemoryDataOperationEnumE0ELi1ELi256ELi256ELi128ELi32ELi8ELi2ELi16ELi16ELi8ELi4ENS_8SequenceIJLi4ELi64ELi1EEEENSB_IJLi1ELi0ELi2EEEESD_Li2ELi8ELi8ELb0ELi1ENSB_IJLi8ELi32ELi1EEEENSB_IJLi0ELi2ELi1EEEESF_Li1ELi4ELi2ELb0ELi0ELi1ELi2ENSB_IJLi1ELi16ELi1ELi16EEEELi4ELNS_13LoopSchedulerE1ELNS_15PipelineVersionE0EDF16_DF16_EELb1EEEvNT_8ArgumentE
; %bb.0:
	s_endpgm
	.section	.rodata,"a",@progbits
	.p2align	6, 0x0
	.amdhsa_kernel _ZN2ck27kernel_gemm_xdl_cshuffle_v1INS_43GridwiseGemm_k0mk1_k0nk1_mn_xdl_cshuffle_v1INS_13tensor_layout4gemm8RowMajorES4_S4_DF16_DF16_fDF16_DF16_NS_16tensor_operation12element_wise11PassThroughES7_S7_LNS5_6device18GemmSpecializationE0ELNS_25InMemoryDataOperationEnumE0ELi1ELi256ELi256ELi128ELi32ELi8ELi2ELi16ELi16ELi8ELi4ENS_8SequenceIJLi4ELi64ELi1EEEENSB_IJLi1ELi0ELi2EEEESD_Li2ELi8ELi8ELb0ELi1ENSB_IJLi8ELi32ELi1EEEENSB_IJLi0ELi2ELi1EEEESF_Li1ELi4ELi2ELb0ELi0ELi1ELi2ENSB_IJLi1ELi16ELi1ELi16EEEELi4ELNS_13LoopSchedulerE1ELNS_15PipelineVersionE0EDF16_DF16_EELb1EEEvNT_8ArgumentE
		.amdhsa_group_segment_fixed_size 0
		.amdhsa_private_segment_fixed_size 0
		.amdhsa_kernarg_size 96
		.amdhsa_user_sgpr_count 2
		.amdhsa_user_sgpr_dispatch_ptr 0
		.amdhsa_user_sgpr_queue_ptr 0
		.amdhsa_user_sgpr_kernarg_segment_ptr 1
		.amdhsa_user_sgpr_dispatch_id 0
		.amdhsa_user_sgpr_private_segment_size 0
		.amdhsa_wavefront_size32 1
		.amdhsa_uses_dynamic_stack 0
		.amdhsa_enable_private_segment 0
		.amdhsa_system_sgpr_workgroup_id_x 1
		.amdhsa_system_sgpr_workgroup_id_y 0
		.amdhsa_system_sgpr_workgroup_id_z 0
		.amdhsa_system_sgpr_workgroup_info 0
		.amdhsa_system_vgpr_workitem_id 0
		.amdhsa_next_free_vgpr 1
		.amdhsa_next_free_sgpr 1
		.amdhsa_reserve_vcc 0
		.amdhsa_float_round_mode_32 0
		.amdhsa_float_round_mode_16_64 0
		.amdhsa_float_denorm_mode_32 3
		.amdhsa_float_denorm_mode_16_64 3
		.amdhsa_fp16_overflow 0
		.amdhsa_workgroup_processor_mode 1
		.amdhsa_memory_ordered 1
		.amdhsa_forward_progress 1
		.amdhsa_inst_pref_size 1
		.amdhsa_round_robin_scheduling 0
		.amdhsa_exception_fp_ieee_invalid_op 0
		.amdhsa_exception_fp_denorm_src 0
		.amdhsa_exception_fp_ieee_div_zero 0
		.amdhsa_exception_fp_ieee_overflow 0
		.amdhsa_exception_fp_ieee_underflow 0
		.amdhsa_exception_fp_ieee_inexact 0
		.amdhsa_exception_int_div_zero 0
	.end_amdhsa_kernel
	.section	.text._ZN2ck27kernel_gemm_xdl_cshuffle_v1INS_43GridwiseGemm_k0mk1_k0nk1_mn_xdl_cshuffle_v1INS_13tensor_layout4gemm8RowMajorES4_S4_DF16_DF16_fDF16_DF16_NS_16tensor_operation12element_wise11PassThroughES7_S7_LNS5_6device18GemmSpecializationE0ELNS_25InMemoryDataOperationEnumE0ELi1ELi256ELi256ELi128ELi32ELi8ELi2ELi16ELi16ELi8ELi4ENS_8SequenceIJLi4ELi64ELi1EEEENSB_IJLi1ELi0ELi2EEEESD_Li2ELi8ELi8ELb0ELi1ENSB_IJLi8ELi32ELi1EEEENSB_IJLi0ELi2ELi1EEEESF_Li1ELi4ELi2ELb0ELi0ELi1ELi2ENSB_IJLi1ELi16ELi1ELi16EEEELi4ELNS_13LoopSchedulerE1ELNS_15PipelineVersionE0EDF16_DF16_EELb1EEEvNT_8ArgumentE,"axG",@progbits,_ZN2ck27kernel_gemm_xdl_cshuffle_v1INS_43GridwiseGemm_k0mk1_k0nk1_mn_xdl_cshuffle_v1INS_13tensor_layout4gemm8RowMajorES4_S4_DF16_DF16_fDF16_DF16_NS_16tensor_operation12element_wise11PassThroughES7_S7_LNS5_6device18GemmSpecializationE0ELNS_25InMemoryDataOperationEnumE0ELi1ELi256ELi256ELi128ELi32ELi8ELi2ELi16ELi16ELi8ELi4ENS_8SequenceIJLi4ELi64ELi1EEEENSB_IJLi1ELi0ELi2EEEESD_Li2ELi8ELi8ELb0ELi1ENSB_IJLi8ELi32ELi1EEEENSB_IJLi0ELi2ELi1EEEESF_Li1ELi4ELi2ELb0ELi0ELi1ELi2ENSB_IJLi1ELi16ELi1ELi16EEEELi4ELNS_13LoopSchedulerE1ELNS_15PipelineVersionE0EDF16_DF16_EELb1EEEvNT_8ArgumentE,comdat
.Lfunc_end1:
	.size	_ZN2ck27kernel_gemm_xdl_cshuffle_v1INS_43GridwiseGemm_k0mk1_k0nk1_mn_xdl_cshuffle_v1INS_13tensor_layout4gemm8RowMajorES4_S4_DF16_DF16_fDF16_DF16_NS_16tensor_operation12element_wise11PassThroughES7_S7_LNS5_6device18GemmSpecializationE0ELNS_25InMemoryDataOperationEnumE0ELi1ELi256ELi256ELi128ELi32ELi8ELi2ELi16ELi16ELi8ELi4ENS_8SequenceIJLi4ELi64ELi1EEEENSB_IJLi1ELi0ELi2EEEESD_Li2ELi8ELi8ELb0ELi1ENSB_IJLi8ELi32ELi1EEEENSB_IJLi0ELi2ELi1EEEESF_Li1ELi4ELi2ELb0ELi0ELi1ELi2ENSB_IJLi1ELi16ELi1ELi16EEEELi4ELNS_13LoopSchedulerE1ELNS_15PipelineVersionE0EDF16_DF16_EELb1EEEvNT_8ArgumentE, .Lfunc_end1-_ZN2ck27kernel_gemm_xdl_cshuffle_v1INS_43GridwiseGemm_k0mk1_k0nk1_mn_xdl_cshuffle_v1INS_13tensor_layout4gemm8RowMajorES4_S4_DF16_DF16_fDF16_DF16_NS_16tensor_operation12element_wise11PassThroughES7_S7_LNS5_6device18GemmSpecializationE0ELNS_25InMemoryDataOperationEnumE0ELi1ELi256ELi256ELi128ELi32ELi8ELi2ELi16ELi16ELi8ELi4ENS_8SequenceIJLi4ELi64ELi1EEEENSB_IJLi1ELi0ELi2EEEESD_Li2ELi8ELi8ELb0ELi1ENSB_IJLi8ELi32ELi1EEEENSB_IJLi0ELi2ELi1EEEESF_Li1ELi4ELi2ELb0ELi0ELi1ELi2ENSB_IJLi1ELi16ELi1ELi16EEEELi4ELNS_13LoopSchedulerE1ELNS_15PipelineVersionE0EDF16_DF16_EELb1EEEvNT_8ArgumentE
                                        ; -- End function
	.set _ZN2ck27kernel_gemm_xdl_cshuffle_v1INS_43GridwiseGemm_k0mk1_k0nk1_mn_xdl_cshuffle_v1INS_13tensor_layout4gemm8RowMajorES4_S4_DF16_DF16_fDF16_DF16_NS_16tensor_operation12element_wise11PassThroughES7_S7_LNS5_6device18GemmSpecializationE0ELNS_25InMemoryDataOperationEnumE0ELi1ELi256ELi256ELi128ELi32ELi8ELi2ELi16ELi16ELi8ELi4ENS_8SequenceIJLi4ELi64ELi1EEEENSB_IJLi1ELi0ELi2EEEESD_Li2ELi8ELi8ELb0ELi1ENSB_IJLi8ELi32ELi1EEEENSB_IJLi0ELi2ELi1EEEESF_Li1ELi4ELi2ELb0ELi0ELi1ELi2ENSB_IJLi1ELi16ELi1ELi16EEEELi4ELNS_13LoopSchedulerE1ELNS_15PipelineVersionE0EDF16_DF16_EELb1EEEvNT_8ArgumentE.num_vgpr, 0
	.set _ZN2ck27kernel_gemm_xdl_cshuffle_v1INS_43GridwiseGemm_k0mk1_k0nk1_mn_xdl_cshuffle_v1INS_13tensor_layout4gemm8RowMajorES4_S4_DF16_DF16_fDF16_DF16_NS_16tensor_operation12element_wise11PassThroughES7_S7_LNS5_6device18GemmSpecializationE0ELNS_25InMemoryDataOperationEnumE0ELi1ELi256ELi256ELi128ELi32ELi8ELi2ELi16ELi16ELi8ELi4ENS_8SequenceIJLi4ELi64ELi1EEEENSB_IJLi1ELi0ELi2EEEESD_Li2ELi8ELi8ELb0ELi1ENSB_IJLi8ELi32ELi1EEEENSB_IJLi0ELi2ELi1EEEESF_Li1ELi4ELi2ELb0ELi0ELi1ELi2ENSB_IJLi1ELi16ELi1ELi16EEEELi4ELNS_13LoopSchedulerE1ELNS_15PipelineVersionE0EDF16_DF16_EELb1EEEvNT_8ArgumentE.num_agpr, 0
	.set _ZN2ck27kernel_gemm_xdl_cshuffle_v1INS_43GridwiseGemm_k0mk1_k0nk1_mn_xdl_cshuffle_v1INS_13tensor_layout4gemm8RowMajorES4_S4_DF16_DF16_fDF16_DF16_NS_16tensor_operation12element_wise11PassThroughES7_S7_LNS5_6device18GemmSpecializationE0ELNS_25InMemoryDataOperationEnumE0ELi1ELi256ELi256ELi128ELi32ELi8ELi2ELi16ELi16ELi8ELi4ENS_8SequenceIJLi4ELi64ELi1EEEENSB_IJLi1ELi0ELi2EEEESD_Li2ELi8ELi8ELb0ELi1ENSB_IJLi8ELi32ELi1EEEENSB_IJLi0ELi2ELi1EEEESF_Li1ELi4ELi2ELb0ELi0ELi1ELi2ENSB_IJLi1ELi16ELi1ELi16EEEELi4ELNS_13LoopSchedulerE1ELNS_15PipelineVersionE0EDF16_DF16_EELb1EEEvNT_8ArgumentE.numbered_sgpr, 0
	.set _ZN2ck27kernel_gemm_xdl_cshuffle_v1INS_43GridwiseGemm_k0mk1_k0nk1_mn_xdl_cshuffle_v1INS_13tensor_layout4gemm8RowMajorES4_S4_DF16_DF16_fDF16_DF16_NS_16tensor_operation12element_wise11PassThroughES7_S7_LNS5_6device18GemmSpecializationE0ELNS_25InMemoryDataOperationEnumE0ELi1ELi256ELi256ELi128ELi32ELi8ELi2ELi16ELi16ELi8ELi4ENS_8SequenceIJLi4ELi64ELi1EEEENSB_IJLi1ELi0ELi2EEEESD_Li2ELi8ELi8ELb0ELi1ENSB_IJLi8ELi32ELi1EEEENSB_IJLi0ELi2ELi1EEEESF_Li1ELi4ELi2ELb0ELi0ELi1ELi2ENSB_IJLi1ELi16ELi1ELi16EEEELi4ELNS_13LoopSchedulerE1ELNS_15PipelineVersionE0EDF16_DF16_EELb1EEEvNT_8ArgumentE.num_named_barrier, 0
	.set _ZN2ck27kernel_gemm_xdl_cshuffle_v1INS_43GridwiseGemm_k0mk1_k0nk1_mn_xdl_cshuffle_v1INS_13tensor_layout4gemm8RowMajorES4_S4_DF16_DF16_fDF16_DF16_NS_16tensor_operation12element_wise11PassThroughES7_S7_LNS5_6device18GemmSpecializationE0ELNS_25InMemoryDataOperationEnumE0ELi1ELi256ELi256ELi128ELi32ELi8ELi2ELi16ELi16ELi8ELi4ENS_8SequenceIJLi4ELi64ELi1EEEENSB_IJLi1ELi0ELi2EEEESD_Li2ELi8ELi8ELb0ELi1ENSB_IJLi8ELi32ELi1EEEENSB_IJLi0ELi2ELi1EEEESF_Li1ELi4ELi2ELb0ELi0ELi1ELi2ENSB_IJLi1ELi16ELi1ELi16EEEELi4ELNS_13LoopSchedulerE1ELNS_15PipelineVersionE0EDF16_DF16_EELb1EEEvNT_8ArgumentE.private_seg_size, 0
	.set _ZN2ck27kernel_gemm_xdl_cshuffle_v1INS_43GridwiseGemm_k0mk1_k0nk1_mn_xdl_cshuffle_v1INS_13tensor_layout4gemm8RowMajorES4_S4_DF16_DF16_fDF16_DF16_NS_16tensor_operation12element_wise11PassThroughES7_S7_LNS5_6device18GemmSpecializationE0ELNS_25InMemoryDataOperationEnumE0ELi1ELi256ELi256ELi128ELi32ELi8ELi2ELi16ELi16ELi8ELi4ENS_8SequenceIJLi4ELi64ELi1EEEENSB_IJLi1ELi0ELi2EEEESD_Li2ELi8ELi8ELb0ELi1ENSB_IJLi8ELi32ELi1EEEENSB_IJLi0ELi2ELi1EEEESF_Li1ELi4ELi2ELb0ELi0ELi1ELi2ENSB_IJLi1ELi16ELi1ELi16EEEELi4ELNS_13LoopSchedulerE1ELNS_15PipelineVersionE0EDF16_DF16_EELb1EEEvNT_8ArgumentE.uses_vcc, 0
	.set _ZN2ck27kernel_gemm_xdl_cshuffle_v1INS_43GridwiseGemm_k0mk1_k0nk1_mn_xdl_cshuffle_v1INS_13tensor_layout4gemm8RowMajorES4_S4_DF16_DF16_fDF16_DF16_NS_16tensor_operation12element_wise11PassThroughES7_S7_LNS5_6device18GemmSpecializationE0ELNS_25InMemoryDataOperationEnumE0ELi1ELi256ELi256ELi128ELi32ELi8ELi2ELi16ELi16ELi8ELi4ENS_8SequenceIJLi4ELi64ELi1EEEENSB_IJLi1ELi0ELi2EEEESD_Li2ELi8ELi8ELb0ELi1ENSB_IJLi8ELi32ELi1EEEENSB_IJLi0ELi2ELi1EEEESF_Li1ELi4ELi2ELb0ELi0ELi1ELi2ENSB_IJLi1ELi16ELi1ELi16EEEELi4ELNS_13LoopSchedulerE1ELNS_15PipelineVersionE0EDF16_DF16_EELb1EEEvNT_8ArgumentE.uses_flat_scratch, 0
	.set _ZN2ck27kernel_gemm_xdl_cshuffle_v1INS_43GridwiseGemm_k0mk1_k0nk1_mn_xdl_cshuffle_v1INS_13tensor_layout4gemm8RowMajorES4_S4_DF16_DF16_fDF16_DF16_NS_16tensor_operation12element_wise11PassThroughES7_S7_LNS5_6device18GemmSpecializationE0ELNS_25InMemoryDataOperationEnumE0ELi1ELi256ELi256ELi128ELi32ELi8ELi2ELi16ELi16ELi8ELi4ENS_8SequenceIJLi4ELi64ELi1EEEENSB_IJLi1ELi0ELi2EEEESD_Li2ELi8ELi8ELb0ELi1ENSB_IJLi8ELi32ELi1EEEENSB_IJLi0ELi2ELi1EEEESF_Li1ELi4ELi2ELb0ELi0ELi1ELi2ENSB_IJLi1ELi16ELi1ELi16EEEELi4ELNS_13LoopSchedulerE1ELNS_15PipelineVersionE0EDF16_DF16_EELb1EEEvNT_8ArgumentE.has_dyn_sized_stack, 0
	.set _ZN2ck27kernel_gemm_xdl_cshuffle_v1INS_43GridwiseGemm_k0mk1_k0nk1_mn_xdl_cshuffle_v1INS_13tensor_layout4gemm8RowMajorES4_S4_DF16_DF16_fDF16_DF16_NS_16tensor_operation12element_wise11PassThroughES7_S7_LNS5_6device18GemmSpecializationE0ELNS_25InMemoryDataOperationEnumE0ELi1ELi256ELi256ELi128ELi32ELi8ELi2ELi16ELi16ELi8ELi4ENS_8SequenceIJLi4ELi64ELi1EEEENSB_IJLi1ELi0ELi2EEEESD_Li2ELi8ELi8ELb0ELi1ENSB_IJLi8ELi32ELi1EEEENSB_IJLi0ELi2ELi1EEEESF_Li1ELi4ELi2ELb0ELi0ELi1ELi2ENSB_IJLi1ELi16ELi1ELi16EEEELi4ELNS_13LoopSchedulerE1ELNS_15PipelineVersionE0EDF16_DF16_EELb1EEEvNT_8ArgumentE.has_recursion, 0
	.set _ZN2ck27kernel_gemm_xdl_cshuffle_v1INS_43GridwiseGemm_k0mk1_k0nk1_mn_xdl_cshuffle_v1INS_13tensor_layout4gemm8RowMajorES4_S4_DF16_DF16_fDF16_DF16_NS_16tensor_operation12element_wise11PassThroughES7_S7_LNS5_6device18GemmSpecializationE0ELNS_25InMemoryDataOperationEnumE0ELi1ELi256ELi256ELi128ELi32ELi8ELi2ELi16ELi16ELi8ELi4ENS_8SequenceIJLi4ELi64ELi1EEEENSB_IJLi1ELi0ELi2EEEESD_Li2ELi8ELi8ELb0ELi1ENSB_IJLi8ELi32ELi1EEEENSB_IJLi0ELi2ELi1EEEESF_Li1ELi4ELi2ELb0ELi0ELi1ELi2ENSB_IJLi1ELi16ELi1ELi16EEEELi4ELNS_13LoopSchedulerE1ELNS_15PipelineVersionE0EDF16_DF16_EELb1EEEvNT_8ArgumentE.has_indirect_call, 0
	.section	.AMDGPU.csdata,"",@progbits
; Kernel info:
; codeLenInByte = 4
; TotalNumSgprs: 0
; NumVgprs: 0
; ScratchSize: 0
; MemoryBound: 0
; FloatMode: 240
; IeeeMode: 1
; LDSByteSize: 0 bytes/workgroup (compile time only)
; SGPRBlocks: 0
; VGPRBlocks: 0
; NumSGPRsForWavesPerEU: 1
; NumVGPRsForWavesPerEU: 1
; Occupancy: 16
; WaveLimiterHint : 0
; COMPUTE_PGM_RSRC2:SCRATCH_EN: 0
; COMPUTE_PGM_RSRC2:USER_SGPR: 2
; COMPUTE_PGM_RSRC2:TRAP_HANDLER: 0
; COMPUTE_PGM_RSRC2:TGID_X_EN: 1
; COMPUTE_PGM_RSRC2:TGID_Y_EN: 0
; COMPUTE_PGM_RSRC2:TGID_Z_EN: 0
; COMPUTE_PGM_RSRC2:TIDIG_COMP_CNT: 0
	.section	.text._ZN2ck27kernel_gemm_xdl_cshuffle_v1INS_43GridwiseGemm_k0mk1_k0nk1_mn_xdl_cshuffle_v1INS_13tensor_layout4gemm8RowMajorES4_S4_DF16_DF16_fDF16_DF16_NS_16tensor_operation12element_wise11PassThroughES7_S7_LNS5_6device18GemmSpecializationE0ELNS_25InMemoryDataOperationEnumE0ELi1ELi256ELi256ELi128ELi32ELi8ELi2ELi16ELi16ELi8ELi4ENS_8SequenceIJLi4ELi64ELi1EEEENSB_IJLi1ELi0ELi2EEEESD_Li2ELi8ELi8ELb0ELi1ENSB_IJLi8ELi32ELi1EEEENSB_IJLi0ELi2ELi1EEEESF_Li1ELi4ELi2ELb0ELi0ELi1ELi2ENSB_IJLi1ELi16ELi1ELi16EEEELi4ELNS_13LoopSchedulerE1ELNS_15PipelineVersionE0EDF16_DF16_EELb0EEEvNT_8ArgumentE,"axG",@progbits,_ZN2ck27kernel_gemm_xdl_cshuffle_v1INS_43GridwiseGemm_k0mk1_k0nk1_mn_xdl_cshuffle_v1INS_13tensor_layout4gemm8RowMajorES4_S4_DF16_DF16_fDF16_DF16_NS_16tensor_operation12element_wise11PassThroughES7_S7_LNS5_6device18GemmSpecializationE0ELNS_25InMemoryDataOperationEnumE0ELi1ELi256ELi256ELi128ELi32ELi8ELi2ELi16ELi16ELi8ELi4ENS_8SequenceIJLi4ELi64ELi1EEEENSB_IJLi1ELi0ELi2EEEESD_Li2ELi8ELi8ELb0ELi1ENSB_IJLi8ELi32ELi1EEEENSB_IJLi0ELi2ELi1EEEESF_Li1ELi4ELi2ELb0ELi0ELi1ELi2ENSB_IJLi1ELi16ELi1ELi16EEEELi4ELNS_13LoopSchedulerE1ELNS_15PipelineVersionE0EDF16_DF16_EELb0EEEvNT_8ArgumentE,comdat
	.protected	_ZN2ck27kernel_gemm_xdl_cshuffle_v1INS_43GridwiseGemm_k0mk1_k0nk1_mn_xdl_cshuffle_v1INS_13tensor_layout4gemm8RowMajorES4_S4_DF16_DF16_fDF16_DF16_NS_16tensor_operation12element_wise11PassThroughES7_S7_LNS5_6device18GemmSpecializationE0ELNS_25InMemoryDataOperationEnumE0ELi1ELi256ELi256ELi128ELi32ELi8ELi2ELi16ELi16ELi8ELi4ENS_8SequenceIJLi4ELi64ELi1EEEENSB_IJLi1ELi0ELi2EEEESD_Li2ELi8ELi8ELb0ELi1ENSB_IJLi8ELi32ELi1EEEENSB_IJLi0ELi2ELi1EEEESF_Li1ELi4ELi2ELb0ELi0ELi1ELi2ENSB_IJLi1ELi16ELi1ELi16EEEELi4ELNS_13LoopSchedulerE1ELNS_15PipelineVersionE0EDF16_DF16_EELb0EEEvNT_8ArgumentE ; -- Begin function _ZN2ck27kernel_gemm_xdl_cshuffle_v1INS_43GridwiseGemm_k0mk1_k0nk1_mn_xdl_cshuffle_v1INS_13tensor_layout4gemm8RowMajorES4_S4_DF16_DF16_fDF16_DF16_NS_16tensor_operation12element_wise11PassThroughES7_S7_LNS5_6device18GemmSpecializationE0ELNS_25InMemoryDataOperationEnumE0ELi1ELi256ELi256ELi128ELi32ELi8ELi2ELi16ELi16ELi8ELi4ENS_8SequenceIJLi4ELi64ELi1EEEENSB_IJLi1ELi0ELi2EEEESD_Li2ELi8ELi8ELb0ELi1ENSB_IJLi8ELi32ELi1EEEENSB_IJLi0ELi2ELi1EEEESF_Li1ELi4ELi2ELb0ELi0ELi1ELi2ENSB_IJLi1ELi16ELi1ELi16EEEELi4ELNS_13LoopSchedulerE1ELNS_15PipelineVersionE0EDF16_DF16_EELb0EEEvNT_8ArgumentE
	.globl	_ZN2ck27kernel_gemm_xdl_cshuffle_v1INS_43GridwiseGemm_k0mk1_k0nk1_mn_xdl_cshuffle_v1INS_13tensor_layout4gemm8RowMajorES4_S4_DF16_DF16_fDF16_DF16_NS_16tensor_operation12element_wise11PassThroughES7_S7_LNS5_6device18GemmSpecializationE0ELNS_25InMemoryDataOperationEnumE0ELi1ELi256ELi256ELi128ELi32ELi8ELi2ELi16ELi16ELi8ELi4ENS_8SequenceIJLi4ELi64ELi1EEEENSB_IJLi1ELi0ELi2EEEESD_Li2ELi8ELi8ELb0ELi1ENSB_IJLi8ELi32ELi1EEEENSB_IJLi0ELi2ELi1EEEESF_Li1ELi4ELi2ELb0ELi0ELi1ELi2ENSB_IJLi1ELi16ELi1ELi16EEEELi4ELNS_13LoopSchedulerE1ELNS_15PipelineVersionE0EDF16_DF16_EELb0EEEvNT_8ArgumentE
	.p2align	8
	.type	_ZN2ck27kernel_gemm_xdl_cshuffle_v1INS_43GridwiseGemm_k0mk1_k0nk1_mn_xdl_cshuffle_v1INS_13tensor_layout4gemm8RowMajorES4_S4_DF16_DF16_fDF16_DF16_NS_16tensor_operation12element_wise11PassThroughES7_S7_LNS5_6device18GemmSpecializationE0ELNS_25InMemoryDataOperationEnumE0ELi1ELi256ELi256ELi128ELi32ELi8ELi2ELi16ELi16ELi8ELi4ENS_8SequenceIJLi4ELi64ELi1EEEENSB_IJLi1ELi0ELi2EEEESD_Li2ELi8ELi8ELb0ELi1ENSB_IJLi8ELi32ELi1EEEENSB_IJLi0ELi2ELi1EEEESF_Li1ELi4ELi2ELb0ELi0ELi1ELi2ENSB_IJLi1ELi16ELi1ELi16EEEELi4ELNS_13LoopSchedulerE1ELNS_15PipelineVersionE0EDF16_DF16_EELb0EEEvNT_8ArgumentE,@function
_ZN2ck27kernel_gemm_xdl_cshuffle_v1INS_43GridwiseGemm_k0mk1_k0nk1_mn_xdl_cshuffle_v1INS_13tensor_layout4gemm8RowMajorES4_S4_DF16_DF16_fDF16_DF16_NS_16tensor_operation12element_wise11PassThroughES7_S7_LNS5_6device18GemmSpecializationE0ELNS_25InMemoryDataOperationEnumE0ELi1ELi256ELi256ELi128ELi32ELi8ELi2ELi16ELi16ELi8ELi4ENS_8SequenceIJLi4ELi64ELi1EEEENSB_IJLi1ELi0ELi2EEEESD_Li2ELi8ELi8ELb0ELi1ENSB_IJLi8ELi32ELi1EEEENSB_IJLi0ELi2ELi1EEEESF_Li1ELi4ELi2ELb0ELi0ELi1ELi2ENSB_IJLi1ELi16ELi1ELi16EEEELi4ELNS_13LoopSchedulerE1ELNS_15PipelineVersionE0EDF16_DF16_EELb0EEEvNT_8ArgumentE: ; @_ZN2ck27kernel_gemm_xdl_cshuffle_v1INS_43GridwiseGemm_k0mk1_k0nk1_mn_xdl_cshuffle_v1INS_13tensor_layout4gemm8RowMajorES4_S4_DF16_DF16_fDF16_DF16_NS_16tensor_operation12element_wise11PassThroughES7_S7_LNS5_6device18GemmSpecializationE0ELNS_25InMemoryDataOperationEnumE0ELi1ELi256ELi256ELi128ELi32ELi8ELi2ELi16ELi16ELi8ELi4ENS_8SequenceIJLi4ELi64ELi1EEEENSB_IJLi1ELi0ELi2EEEESD_Li2ELi8ELi8ELb0ELi1ENSB_IJLi8ELi32ELi1EEEENSB_IJLi0ELi2ELi1EEEESF_Li1ELi4ELi2ELb0ELi0ELi1ELi2ENSB_IJLi1ELi16ELi1ELi16EEEELi4ELNS_13LoopSchedulerE1ELNS_15PipelineVersionE0EDF16_DF16_EELb0EEEvNT_8ArgumentE
; %bb.0:
	s_endpgm
	.section	.rodata,"a",@progbits
	.p2align	6, 0x0
	.amdhsa_kernel _ZN2ck27kernel_gemm_xdl_cshuffle_v1INS_43GridwiseGemm_k0mk1_k0nk1_mn_xdl_cshuffle_v1INS_13tensor_layout4gemm8RowMajorES4_S4_DF16_DF16_fDF16_DF16_NS_16tensor_operation12element_wise11PassThroughES7_S7_LNS5_6device18GemmSpecializationE0ELNS_25InMemoryDataOperationEnumE0ELi1ELi256ELi256ELi128ELi32ELi8ELi2ELi16ELi16ELi8ELi4ENS_8SequenceIJLi4ELi64ELi1EEEENSB_IJLi1ELi0ELi2EEEESD_Li2ELi8ELi8ELb0ELi1ENSB_IJLi8ELi32ELi1EEEENSB_IJLi0ELi2ELi1EEEESF_Li1ELi4ELi2ELb0ELi0ELi1ELi2ENSB_IJLi1ELi16ELi1ELi16EEEELi4ELNS_13LoopSchedulerE1ELNS_15PipelineVersionE0EDF16_DF16_EELb0EEEvNT_8ArgumentE
		.amdhsa_group_segment_fixed_size 0
		.amdhsa_private_segment_fixed_size 0
		.amdhsa_kernarg_size 96
		.amdhsa_user_sgpr_count 2
		.amdhsa_user_sgpr_dispatch_ptr 0
		.amdhsa_user_sgpr_queue_ptr 0
		.amdhsa_user_sgpr_kernarg_segment_ptr 1
		.amdhsa_user_sgpr_dispatch_id 0
		.amdhsa_user_sgpr_private_segment_size 0
		.amdhsa_wavefront_size32 1
		.amdhsa_uses_dynamic_stack 0
		.amdhsa_enable_private_segment 0
		.amdhsa_system_sgpr_workgroup_id_x 1
		.amdhsa_system_sgpr_workgroup_id_y 0
		.amdhsa_system_sgpr_workgroup_id_z 0
		.amdhsa_system_sgpr_workgroup_info 0
		.amdhsa_system_vgpr_workitem_id 0
		.amdhsa_next_free_vgpr 1
		.amdhsa_next_free_sgpr 1
		.amdhsa_reserve_vcc 0
		.amdhsa_float_round_mode_32 0
		.amdhsa_float_round_mode_16_64 0
		.amdhsa_float_denorm_mode_32 3
		.amdhsa_float_denorm_mode_16_64 3
		.amdhsa_fp16_overflow 0
		.amdhsa_workgroup_processor_mode 1
		.amdhsa_memory_ordered 1
		.amdhsa_forward_progress 1
		.amdhsa_inst_pref_size 1
		.amdhsa_round_robin_scheduling 0
		.amdhsa_exception_fp_ieee_invalid_op 0
		.amdhsa_exception_fp_denorm_src 0
		.amdhsa_exception_fp_ieee_div_zero 0
		.amdhsa_exception_fp_ieee_overflow 0
		.amdhsa_exception_fp_ieee_underflow 0
		.amdhsa_exception_fp_ieee_inexact 0
		.amdhsa_exception_int_div_zero 0
	.end_amdhsa_kernel
	.section	.text._ZN2ck27kernel_gemm_xdl_cshuffle_v1INS_43GridwiseGemm_k0mk1_k0nk1_mn_xdl_cshuffle_v1INS_13tensor_layout4gemm8RowMajorES4_S4_DF16_DF16_fDF16_DF16_NS_16tensor_operation12element_wise11PassThroughES7_S7_LNS5_6device18GemmSpecializationE0ELNS_25InMemoryDataOperationEnumE0ELi1ELi256ELi256ELi128ELi32ELi8ELi2ELi16ELi16ELi8ELi4ENS_8SequenceIJLi4ELi64ELi1EEEENSB_IJLi1ELi0ELi2EEEESD_Li2ELi8ELi8ELb0ELi1ENSB_IJLi8ELi32ELi1EEEENSB_IJLi0ELi2ELi1EEEESF_Li1ELi4ELi2ELb0ELi0ELi1ELi2ENSB_IJLi1ELi16ELi1ELi16EEEELi4ELNS_13LoopSchedulerE1ELNS_15PipelineVersionE0EDF16_DF16_EELb0EEEvNT_8ArgumentE,"axG",@progbits,_ZN2ck27kernel_gemm_xdl_cshuffle_v1INS_43GridwiseGemm_k0mk1_k0nk1_mn_xdl_cshuffle_v1INS_13tensor_layout4gemm8RowMajorES4_S4_DF16_DF16_fDF16_DF16_NS_16tensor_operation12element_wise11PassThroughES7_S7_LNS5_6device18GemmSpecializationE0ELNS_25InMemoryDataOperationEnumE0ELi1ELi256ELi256ELi128ELi32ELi8ELi2ELi16ELi16ELi8ELi4ENS_8SequenceIJLi4ELi64ELi1EEEENSB_IJLi1ELi0ELi2EEEESD_Li2ELi8ELi8ELb0ELi1ENSB_IJLi8ELi32ELi1EEEENSB_IJLi0ELi2ELi1EEEESF_Li1ELi4ELi2ELb0ELi0ELi1ELi2ENSB_IJLi1ELi16ELi1ELi16EEEELi4ELNS_13LoopSchedulerE1ELNS_15PipelineVersionE0EDF16_DF16_EELb0EEEvNT_8ArgumentE,comdat
.Lfunc_end2:
	.size	_ZN2ck27kernel_gemm_xdl_cshuffle_v1INS_43GridwiseGemm_k0mk1_k0nk1_mn_xdl_cshuffle_v1INS_13tensor_layout4gemm8RowMajorES4_S4_DF16_DF16_fDF16_DF16_NS_16tensor_operation12element_wise11PassThroughES7_S7_LNS5_6device18GemmSpecializationE0ELNS_25InMemoryDataOperationEnumE0ELi1ELi256ELi256ELi128ELi32ELi8ELi2ELi16ELi16ELi8ELi4ENS_8SequenceIJLi4ELi64ELi1EEEENSB_IJLi1ELi0ELi2EEEESD_Li2ELi8ELi8ELb0ELi1ENSB_IJLi8ELi32ELi1EEEENSB_IJLi0ELi2ELi1EEEESF_Li1ELi4ELi2ELb0ELi0ELi1ELi2ENSB_IJLi1ELi16ELi1ELi16EEEELi4ELNS_13LoopSchedulerE1ELNS_15PipelineVersionE0EDF16_DF16_EELb0EEEvNT_8ArgumentE, .Lfunc_end2-_ZN2ck27kernel_gemm_xdl_cshuffle_v1INS_43GridwiseGemm_k0mk1_k0nk1_mn_xdl_cshuffle_v1INS_13tensor_layout4gemm8RowMajorES4_S4_DF16_DF16_fDF16_DF16_NS_16tensor_operation12element_wise11PassThroughES7_S7_LNS5_6device18GemmSpecializationE0ELNS_25InMemoryDataOperationEnumE0ELi1ELi256ELi256ELi128ELi32ELi8ELi2ELi16ELi16ELi8ELi4ENS_8SequenceIJLi4ELi64ELi1EEEENSB_IJLi1ELi0ELi2EEEESD_Li2ELi8ELi8ELb0ELi1ENSB_IJLi8ELi32ELi1EEEENSB_IJLi0ELi2ELi1EEEESF_Li1ELi4ELi2ELb0ELi0ELi1ELi2ENSB_IJLi1ELi16ELi1ELi16EEEELi4ELNS_13LoopSchedulerE1ELNS_15PipelineVersionE0EDF16_DF16_EELb0EEEvNT_8ArgumentE
                                        ; -- End function
	.set _ZN2ck27kernel_gemm_xdl_cshuffle_v1INS_43GridwiseGemm_k0mk1_k0nk1_mn_xdl_cshuffle_v1INS_13tensor_layout4gemm8RowMajorES4_S4_DF16_DF16_fDF16_DF16_NS_16tensor_operation12element_wise11PassThroughES7_S7_LNS5_6device18GemmSpecializationE0ELNS_25InMemoryDataOperationEnumE0ELi1ELi256ELi256ELi128ELi32ELi8ELi2ELi16ELi16ELi8ELi4ENS_8SequenceIJLi4ELi64ELi1EEEENSB_IJLi1ELi0ELi2EEEESD_Li2ELi8ELi8ELb0ELi1ENSB_IJLi8ELi32ELi1EEEENSB_IJLi0ELi2ELi1EEEESF_Li1ELi4ELi2ELb0ELi0ELi1ELi2ENSB_IJLi1ELi16ELi1ELi16EEEELi4ELNS_13LoopSchedulerE1ELNS_15PipelineVersionE0EDF16_DF16_EELb0EEEvNT_8ArgumentE.num_vgpr, 0
	.set _ZN2ck27kernel_gemm_xdl_cshuffle_v1INS_43GridwiseGemm_k0mk1_k0nk1_mn_xdl_cshuffle_v1INS_13tensor_layout4gemm8RowMajorES4_S4_DF16_DF16_fDF16_DF16_NS_16tensor_operation12element_wise11PassThroughES7_S7_LNS5_6device18GemmSpecializationE0ELNS_25InMemoryDataOperationEnumE0ELi1ELi256ELi256ELi128ELi32ELi8ELi2ELi16ELi16ELi8ELi4ENS_8SequenceIJLi4ELi64ELi1EEEENSB_IJLi1ELi0ELi2EEEESD_Li2ELi8ELi8ELb0ELi1ENSB_IJLi8ELi32ELi1EEEENSB_IJLi0ELi2ELi1EEEESF_Li1ELi4ELi2ELb0ELi0ELi1ELi2ENSB_IJLi1ELi16ELi1ELi16EEEELi4ELNS_13LoopSchedulerE1ELNS_15PipelineVersionE0EDF16_DF16_EELb0EEEvNT_8ArgumentE.num_agpr, 0
	.set _ZN2ck27kernel_gemm_xdl_cshuffle_v1INS_43GridwiseGemm_k0mk1_k0nk1_mn_xdl_cshuffle_v1INS_13tensor_layout4gemm8RowMajorES4_S4_DF16_DF16_fDF16_DF16_NS_16tensor_operation12element_wise11PassThroughES7_S7_LNS5_6device18GemmSpecializationE0ELNS_25InMemoryDataOperationEnumE0ELi1ELi256ELi256ELi128ELi32ELi8ELi2ELi16ELi16ELi8ELi4ENS_8SequenceIJLi4ELi64ELi1EEEENSB_IJLi1ELi0ELi2EEEESD_Li2ELi8ELi8ELb0ELi1ENSB_IJLi8ELi32ELi1EEEENSB_IJLi0ELi2ELi1EEEESF_Li1ELi4ELi2ELb0ELi0ELi1ELi2ENSB_IJLi1ELi16ELi1ELi16EEEELi4ELNS_13LoopSchedulerE1ELNS_15PipelineVersionE0EDF16_DF16_EELb0EEEvNT_8ArgumentE.numbered_sgpr, 0
	.set _ZN2ck27kernel_gemm_xdl_cshuffle_v1INS_43GridwiseGemm_k0mk1_k0nk1_mn_xdl_cshuffle_v1INS_13tensor_layout4gemm8RowMajorES4_S4_DF16_DF16_fDF16_DF16_NS_16tensor_operation12element_wise11PassThroughES7_S7_LNS5_6device18GemmSpecializationE0ELNS_25InMemoryDataOperationEnumE0ELi1ELi256ELi256ELi128ELi32ELi8ELi2ELi16ELi16ELi8ELi4ENS_8SequenceIJLi4ELi64ELi1EEEENSB_IJLi1ELi0ELi2EEEESD_Li2ELi8ELi8ELb0ELi1ENSB_IJLi8ELi32ELi1EEEENSB_IJLi0ELi2ELi1EEEESF_Li1ELi4ELi2ELb0ELi0ELi1ELi2ENSB_IJLi1ELi16ELi1ELi16EEEELi4ELNS_13LoopSchedulerE1ELNS_15PipelineVersionE0EDF16_DF16_EELb0EEEvNT_8ArgumentE.num_named_barrier, 0
	.set _ZN2ck27kernel_gemm_xdl_cshuffle_v1INS_43GridwiseGemm_k0mk1_k0nk1_mn_xdl_cshuffle_v1INS_13tensor_layout4gemm8RowMajorES4_S4_DF16_DF16_fDF16_DF16_NS_16tensor_operation12element_wise11PassThroughES7_S7_LNS5_6device18GemmSpecializationE0ELNS_25InMemoryDataOperationEnumE0ELi1ELi256ELi256ELi128ELi32ELi8ELi2ELi16ELi16ELi8ELi4ENS_8SequenceIJLi4ELi64ELi1EEEENSB_IJLi1ELi0ELi2EEEESD_Li2ELi8ELi8ELb0ELi1ENSB_IJLi8ELi32ELi1EEEENSB_IJLi0ELi2ELi1EEEESF_Li1ELi4ELi2ELb0ELi0ELi1ELi2ENSB_IJLi1ELi16ELi1ELi16EEEELi4ELNS_13LoopSchedulerE1ELNS_15PipelineVersionE0EDF16_DF16_EELb0EEEvNT_8ArgumentE.private_seg_size, 0
	.set _ZN2ck27kernel_gemm_xdl_cshuffle_v1INS_43GridwiseGemm_k0mk1_k0nk1_mn_xdl_cshuffle_v1INS_13tensor_layout4gemm8RowMajorES4_S4_DF16_DF16_fDF16_DF16_NS_16tensor_operation12element_wise11PassThroughES7_S7_LNS5_6device18GemmSpecializationE0ELNS_25InMemoryDataOperationEnumE0ELi1ELi256ELi256ELi128ELi32ELi8ELi2ELi16ELi16ELi8ELi4ENS_8SequenceIJLi4ELi64ELi1EEEENSB_IJLi1ELi0ELi2EEEESD_Li2ELi8ELi8ELb0ELi1ENSB_IJLi8ELi32ELi1EEEENSB_IJLi0ELi2ELi1EEEESF_Li1ELi4ELi2ELb0ELi0ELi1ELi2ENSB_IJLi1ELi16ELi1ELi16EEEELi4ELNS_13LoopSchedulerE1ELNS_15PipelineVersionE0EDF16_DF16_EELb0EEEvNT_8ArgumentE.uses_vcc, 0
	.set _ZN2ck27kernel_gemm_xdl_cshuffle_v1INS_43GridwiseGemm_k0mk1_k0nk1_mn_xdl_cshuffle_v1INS_13tensor_layout4gemm8RowMajorES4_S4_DF16_DF16_fDF16_DF16_NS_16tensor_operation12element_wise11PassThroughES7_S7_LNS5_6device18GemmSpecializationE0ELNS_25InMemoryDataOperationEnumE0ELi1ELi256ELi256ELi128ELi32ELi8ELi2ELi16ELi16ELi8ELi4ENS_8SequenceIJLi4ELi64ELi1EEEENSB_IJLi1ELi0ELi2EEEESD_Li2ELi8ELi8ELb0ELi1ENSB_IJLi8ELi32ELi1EEEENSB_IJLi0ELi2ELi1EEEESF_Li1ELi4ELi2ELb0ELi0ELi1ELi2ENSB_IJLi1ELi16ELi1ELi16EEEELi4ELNS_13LoopSchedulerE1ELNS_15PipelineVersionE0EDF16_DF16_EELb0EEEvNT_8ArgumentE.uses_flat_scratch, 0
	.set _ZN2ck27kernel_gemm_xdl_cshuffle_v1INS_43GridwiseGemm_k0mk1_k0nk1_mn_xdl_cshuffle_v1INS_13tensor_layout4gemm8RowMajorES4_S4_DF16_DF16_fDF16_DF16_NS_16tensor_operation12element_wise11PassThroughES7_S7_LNS5_6device18GemmSpecializationE0ELNS_25InMemoryDataOperationEnumE0ELi1ELi256ELi256ELi128ELi32ELi8ELi2ELi16ELi16ELi8ELi4ENS_8SequenceIJLi4ELi64ELi1EEEENSB_IJLi1ELi0ELi2EEEESD_Li2ELi8ELi8ELb0ELi1ENSB_IJLi8ELi32ELi1EEEENSB_IJLi0ELi2ELi1EEEESF_Li1ELi4ELi2ELb0ELi0ELi1ELi2ENSB_IJLi1ELi16ELi1ELi16EEEELi4ELNS_13LoopSchedulerE1ELNS_15PipelineVersionE0EDF16_DF16_EELb0EEEvNT_8ArgumentE.has_dyn_sized_stack, 0
	.set _ZN2ck27kernel_gemm_xdl_cshuffle_v1INS_43GridwiseGemm_k0mk1_k0nk1_mn_xdl_cshuffle_v1INS_13tensor_layout4gemm8RowMajorES4_S4_DF16_DF16_fDF16_DF16_NS_16tensor_operation12element_wise11PassThroughES7_S7_LNS5_6device18GemmSpecializationE0ELNS_25InMemoryDataOperationEnumE0ELi1ELi256ELi256ELi128ELi32ELi8ELi2ELi16ELi16ELi8ELi4ENS_8SequenceIJLi4ELi64ELi1EEEENSB_IJLi1ELi0ELi2EEEESD_Li2ELi8ELi8ELb0ELi1ENSB_IJLi8ELi32ELi1EEEENSB_IJLi0ELi2ELi1EEEESF_Li1ELi4ELi2ELb0ELi0ELi1ELi2ENSB_IJLi1ELi16ELi1ELi16EEEELi4ELNS_13LoopSchedulerE1ELNS_15PipelineVersionE0EDF16_DF16_EELb0EEEvNT_8ArgumentE.has_recursion, 0
	.set _ZN2ck27kernel_gemm_xdl_cshuffle_v1INS_43GridwiseGemm_k0mk1_k0nk1_mn_xdl_cshuffle_v1INS_13tensor_layout4gemm8RowMajorES4_S4_DF16_DF16_fDF16_DF16_NS_16tensor_operation12element_wise11PassThroughES7_S7_LNS5_6device18GemmSpecializationE0ELNS_25InMemoryDataOperationEnumE0ELi1ELi256ELi256ELi128ELi32ELi8ELi2ELi16ELi16ELi8ELi4ENS_8SequenceIJLi4ELi64ELi1EEEENSB_IJLi1ELi0ELi2EEEESD_Li2ELi8ELi8ELb0ELi1ENSB_IJLi8ELi32ELi1EEEENSB_IJLi0ELi2ELi1EEEESF_Li1ELi4ELi2ELb0ELi0ELi1ELi2ENSB_IJLi1ELi16ELi1ELi16EEEELi4ELNS_13LoopSchedulerE1ELNS_15PipelineVersionE0EDF16_DF16_EELb0EEEvNT_8ArgumentE.has_indirect_call, 0
	.section	.AMDGPU.csdata,"",@progbits
; Kernel info:
; codeLenInByte = 4
; TotalNumSgprs: 0
; NumVgprs: 0
; ScratchSize: 0
; MemoryBound: 0
; FloatMode: 240
; IeeeMode: 1
; LDSByteSize: 0 bytes/workgroup (compile time only)
; SGPRBlocks: 0
; VGPRBlocks: 0
; NumSGPRsForWavesPerEU: 1
; NumVGPRsForWavesPerEU: 1
; Occupancy: 16
; WaveLimiterHint : 0
; COMPUTE_PGM_RSRC2:SCRATCH_EN: 0
; COMPUTE_PGM_RSRC2:USER_SGPR: 2
; COMPUTE_PGM_RSRC2:TRAP_HANDLER: 0
; COMPUTE_PGM_RSRC2:TGID_X_EN: 1
; COMPUTE_PGM_RSRC2:TGID_Y_EN: 0
; COMPUTE_PGM_RSRC2:TGID_Z_EN: 0
; COMPUTE_PGM_RSRC2:TIDIG_COMP_CNT: 0
	.section	.text._ZN2ck27kernel_gemm_xdl_cshuffle_v1INS_43GridwiseGemm_k0mk1_k0nk1_mn_xdl_cshuffle_v1INS_13tensor_layout4gemm8RowMajorES4_S4_DF16_DF16_fDF16_DF16_NS_16tensor_operation12element_wise11PassThroughES7_S7_LNS5_6device18GemmSpecializationE0ELNS_25InMemoryDataOperationEnumE0ELi1ELi256ELi256ELi128ELi32ELi8ELi2ELi16ELi16ELi8ELi2ENS_8SequenceIJLi4ELi64ELi1EEEENSB_IJLi1ELi0ELi2EEEESD_Li2ELi8ELi8ELb0ELi1ENSB_IJLi8ELi32ELi1EEEENSB_IJLi0ELi2ELi1EEEESF_Li1ELi4ELi2ELb0ELi0ELi1ELi2ENSB_IJLi1ELi16ELi1ELi16EEEELi4ELNS_13LoopSchedulerE1ELNS_15PipelineVersionE0EDF16_DF16_EELb1EEEvNT_8ArgumentE,"axG",@progbits,_ZN2ck27kernel_gemm_xdl_cshuffle_v1INS_43GridwiseGemm_k0mk1_k0nk1_mn_xdl_cshuffle_v1INS_13tensor_layout4gemm8RowMajorES4_S4_DF16_DF16_fDF16_DF16_NS_16tensor_operation12element_wise11PassThroughES7_S7_LNS5_6device18GemmSpecializationE0ELNS_25InMemoryDataOperationEnumE0ELi1ELi256ELi256ELi128ELi32ELi8ELi2ELi16ELi16ELi8ELi2ENS_8SequenceIJLi4ELi64ELi1EEEENSB_IJLi1ELi0ELi2EEEESD_Li2ELi8ELi8ELb0ELi1ENSB_IJLi8ELi32ELi1EEEENSB_IJLi0ELi2ELi1EEEESF_Li1ELi4ELi2ELb0ELi0ELi1ELi2ENSB_IJLi1ELi16ELi1ELi16EEEELi4ELNS_13LoopSchedulerE1ELNS_15PipelineVersionE0EDF16_DF16_EELb1EEEvNT_8ArgumentE,comdat
	.protected	_ZN2ck27kernel_gemm_xdl_cshuffle_v1INS_43GridwiseGemm_k0mk1_k0nk1_mn_xdl_cshuffle_v1INS_13tensor_layout4gemm8RowMajorES4_S4_DF16_DF16_fDF16_DF16_NS_16tensor_operation12element_wise11PassThroughES7_S7_LNS5_6device18GemmSpecializationE0ELNS_25InMemoryDataOperationEnumE0ELi1ELi256ELi256ELi128ELi32ELi8ELi2ELi16ELi16ELi8ELi2ENS_8SequenceIJLi4ELi64ELi1EEEENSB_IJLi1ELi0ELi2EEEESD_Li2ELi8ELi8ELb0ELi1ENSB_IJLi8ELi32ELi1EEEENSB_IJLi0ELi2ELi1EEEESF_Li1ELi4ELi2ELb0ELi0ELi1ELi2ENSB_IJLi1ELi16ELi1ELi16EEEELi4ELNS_13LoopSchedulerE1ELNS_15PipelineVersionE0EDF16_DF16_EELb1EEEvNT_8ArgumentE ; -- Begin function _ZN2ck27kernel_gemm_xdl_cshuffle_v1INS_43GridwiseGemm_k0mk1_k0nk1_mn_xdl_cshuffle_v1INS_13tensor_layout4gemm8RowMajorES4_S4_DF16_DF16_fDF16_DF16_NS_16tensor_operation12element_wise11PassThroughES7_S7_LNS5_6device18GemmSpecializationE0ELNS_25InMemoryDataOperationEnumE0ELi1ELi256ELi256ELi128ELi32ELi8ELi2ELi16ELi16ELi8ELi2ENS_8SequenceIJLi4ELi64ELi1EEEENSB_IJLi1ELi0ELi2EEEESD_Li2ELi8ELi8ELb0ELi1ENSB_IJLi8ELi32ELi1EEEENSB_IJLi0ELi2ELi1EEEESF_Li1ELi4ELi2ELb0ELi0ELi1ELi2ENSB_IJLi1ELi16ELi1ELi16EEEELi4ELNS_13LoopSchedulerE1ELNS_15PipelineVersionE0EDF16_DF16_EELb1EEEvNT_8ArgumentE
	.globl	_ZN2ck27kernel_gemm_xdl_cshuffle_v1INS_43GridwiseGemm_k0mk1_k0nk1_mn_xdl_cshuffle_v1INS_13tensor_layout4gemm8RowMajorES4_S4_DF16_DF16_fDF16_DF16_NS_16tensor_operation12element_wise11PassThroughES7_S7_LNS5_6device18GemmSpecializationE0ELNS_25InMemoryDataOperationEnumE0ELi1ELi256ELi256ELi128ELi32ELi8ELi2ELi16ELi16ELi8ELi2ENS_8SequenceIJLi4ELi64ELi1EEEENSB_IJLi1ELi0ELi2EEEESD_Li2ELi8ELi8ELb0ELi1ENSB_IJLi8ELi32ELi1EEEENSB_IJLi0ELi2ELi1EEEESF_Li1ELi4ELi2ELb0ELi0ELi1ELi2ENSB_IJLi1ELi16ELi1ELi16EEEELi4ELNS_13LoopSchedulerE1ELNS_15PipelineVersionE0EDF16_DF16_EELb1EEEvNT_8ArgumentE
	.p2align	8
	.type	_ZN2ck27kernel_gemm_xdl_cshuffle_v1INS_43GridwiseGemm_k0mk1_k0nk1_mn_xdl_cshuffle_v1INS_13tensor_layout4gemm8RowMajorES4_S4_DF16_DF16_fDF16_DF16_NS_16tensor_operation12element_wise11PassThroughES7_S7_LNS5_6device18GemmSpecializationE0ELNS_25InMemoryDataOperationEnumE0ELi1ELi256ELi256ELi128ELi32ELi8ELi2ELi16ELi16ELi8ELi2ENS_8SequenceIJLi4ELi64ELi1EEEENSB_IJLi1ELi0ELi2EEEESD_Li2ELi8ELi8ELb0ELi1ENSB_IJLi8ELi32ELi1EEEENSB_IJLi0ELi2ELi1EEEESF_Li1ELi4ELi2ELb0ELi0ELi1ELi2ENSB_IJLi1ELi16ELi1ELi16EEEELi4ELNS_13LoopSchedulerE1ELNS_15PipelineVersionE0EDF16_DF16_EELb1EEEvNT_8ArgumentE,@function
_ZN2ck27kernel_gemm_xdl_cshuffle_v1INS_43GridwiseGemm_k0mk1_k0nk1_mn_xdl_cshuffle_v1INS_13tensor_layout4gemm8RowMajorES4_S4_DF16_DF16_fDF16_DF16_NS_16tensor_operation12element_wise11PassThroughES7_S7_LNS5_6device18GemmSpecializationE0ELNS_25InMemoryDataOperationEnumE0ELi1ELi256ELi256ELi128ELi32ELi8ELi2ELi16ELi16ELi8ELi2ENS_8SequenceIJLi4ELi64ELi1EEEENSB_IJLi1ELi0ELi2EEEESD_Li2ELi8ELi8ELb0ELi1ENSB_IJLi8ELi32ELi1EEEENSB_IJLi0ELi2ELi1EEEESF_Li1ELi4ELi2ELb0ELi0ELi1ELi2ENSB_IJLi1ELi16ELi1ELi16EEEELi4ELNS_13LoopSchedulerE1ELNS_15PipelineVersionE0EDF16_DF16_EELb1EEEvNT_8ArgumentE: ; @_ZN2ck27kernel_gemm_xdl_cshuffle_v1INS_43GridwiseGemm_k0mk1_k0nk1_mn_xdl_cshuffle_v1INS_13tensor_layout4gemm8RowMajorES4_S4_DF16_DF16_fDF16_DF16_NS_16tensor_operation12element_wise11PassThroughES7_S7_LNS5_6device18GemmSpecializationE0ELNS_25InMemoryDataOperationEnumE0ELi1ELi256ELi256ELi128ELi32ELi8ELi2ELi16ELi16ELi8ELi2ENS_8SequenceIJLi4ELi64ELi1EEEENSB_IJLi1ELi0ELi2EEEESD_Li2ELi8ELi8ELb0ELi1ENSB_IJLi8ELi32ELi1EEEENSB_IJLi0ELi2ELi1EEEESF_Li1ELi4ELi2ELb0ELi0ELi1ELi2ENSB_IJLi1ELi16ELi1ELi16EEEELi4ELNS_13LoopSchedulerE1ELNS_15PipelineVersionE0EDF16_DF16_EELb1EEEvNT_8ArgumentE
; %bb.0:
	s_clause 0x1
	s_load_b128 s[4:7], s[0:1], 0x10
	s_load_b64 s[20:21], s[0:1], 0x20
	s_abs_i32 s11, ttmp9
	v_and_b32_e32 v131, 0xfc, v0
	v_lshlrev_b32_e32 v2, 2, v0
	s_mov_b32 s25, 0
	v_and_b32_e32 v132, 3, v0
	s_mov_b32 s22, s25
	v_lshrrev_b32_e32 v139, 5, v0
	v_and_b32_e32 v134, 0x7c, v2
	s_delay_alu instid0(VALU_DEP_3)
	v_lshlrev_b32_e32 v137, 3, v132
	s_wait_kmcnt 0x0
	s_add_co_i32 s2, s4, 0xff
	s_add_co_i32 s3, s5, 0x7f
	s_ashr_i32 s8, s2, 31
	s_ashr_i32 s9, s3, 31
	s_lshr_b32 s8, s8, 24
	s_lshr_b32 s9, s9, 25
	s_add_co_i32 s2, s2, s8
	s_add_co_i32 s3, s3, s9
	s_ashr_i32 s2, s2, 8
	s_ashr_i32 s8, s3, 7
	s_add_co_i32 s23, s4, -1
	s_mul_i32 s3, s8, s2
	s_delay_alu instid0(SALU_CYCLE_1) | instskip(NEXT) | instid1(SALU_CYCLE_1)
	s_abs_i32 s9, s3
	s_cvt_f32_u32 s3, s9
	s_sub_co_i32 s10, 0, s9
	s_delay_alu instid0(SALU_CYCLE_2) | instskip(NEXT) | instid1(TRANS32_DEP_1)
	v_rcp_iflag_f32_e32 v1, s3
	v_readfirstlane_b32 s3, v1
	s_mul_f32 s3, s3, 0x4f7ffffe
	s_wait_alu 0xfffe
	s_delay_alu instid0(SALU_CYCLE_2) | instskip(SKIP_1) | instid1(SALU_CYCLE_2)
	s_cvt_u32_f32 s3, s3
	s_wait_alu 0xfffe
	s_mul_i32 s10, s10, s3
	s_delay_alu instid0(SALU_CYCLE_1) | instskip(NEXT) | instid1(SALU_CYCLE_1)
	s_mul_hi_u32 s10, s3, s10
	s_add_co_i32 s3, s3, s10
	s_ashr_i32 s10, ttmp9, 31
	s_wait_alu 0xfffe
	s_mul_hi_u32 s3, s11, s3
	s_wait_alu 0xfffe
	s_mul_i32 s3, s3, s9
	s_wait_alu 0xfffe
	s_sub_co_i32 s4, s11, s3
	s_add_co_i32 s3, s6, 0x7fffffff
	s_sub_co_i32 s11, s4, s9
	s_cmp_ge_u32 s4, s9
	s_cselect_b32 s4, s11, s4
	s_delay_alu instid0(SALU_CYCLE_1)
	s_sub_co_i32 s11, s4, s9
	s_cmp_ge_u32 s4, s9
	s_cselect_b32 s4, s11, s4
	s_abs_i32 s9, s8
	s_xor_b32 s4, s4, s10
	s_cvt_f32_u32 s11, s9
	s_sub_co_i32 s12, 0, s9
	s_sub_co_i32 s4, s4, s10
	s_delay_alu instid0(SALU_CYCLE_1) | instskip(NEXT) | instid1(TRANS32_DEP_1)
	v_rcp_iflag_f32_e32 v1, s11
	v_readfirstlane_b32 s11, v1
	s_mul_f32 s11, s11, 0x4f7ffffe
	s_wait_alu 0xfffe
	s_delay_alu instid0(SALU_CYCLE_2) | instskip(SKIP_1) | instid1(SALU_CYCLE_2)
	s_cvt_u32_f32 s11, s11
	s_wait_alu 0xfffe
	s_mul_i32 s12, s12, s11
	s_delay_alu instid0(SALU_CYCLE_1)
	s_mul_hi_u32 s10, s11, s12
	s_abs_i32 s12, s4
	s_wait_alu 0xfffe
	s_add_co_i32 s11, s11, s10
	s_wait_alu 0xfffe
	s_mul_hi_u32 s10, s12, s11
	s_xor_b32 s11, s4, s8
	s_wait_alu 0xfffe
	s_mul_i32 s13, s10, s9
	s_ashr_i32 s11, s11, 31
	s_sub_co_i32 s12, s12, s13
	s_add_co_i32 s13, s10, 1
	s_sub_co_i32 s14, s12, s9
	s_cmp_ge_u32 s12, s9
	s_cselect_b32 s10, s13, s10
	s_cselect_b32 s12, s14, s12
	s_wait_alu 0xfffe
	s_add_co_i32 s13, s10, 1
	s_cmp_ge_u32 s12, s9
	s_cselect_b32 s9, s13, s10
	s_lshr_b32 s10, s2, 29
	s_xor_b32 s9, s9, s11
	s_wait_alu 0xfffe
	s_add_co_i32 s10, s2, s10
	s_sub_co_i32 s9, s9, s11
	s_wait_alu 0xfffe
	s_and_b32 s10, s10, -8
	s_mul_i32 s24, s9, s8
	s_wait_alu 0xfffe
	s_sub_co_i32 s2, s2, s10
	s_cmp_ge_i32 s9, s10
	s_clause 0x1
	s_load_b128 s[12:15], s[0:1], 0x48
	s_load_b32 s27, s[0:1], 0x34
	s_cselect_b32 s10, s2, 8
	s_ashr_i32 s18, s9, 31
	s_wait_alu 0xfffe
	s_abs_i32 s16, s10
	s_lshr_b32 s18, s18, 29
	s_cvt_f32_u32 s2, s16
	s_add_co_i32 s18, s9, s18
	s_sub_co_i32 s4, s4, s24
	s_and_b32 s26, s18, -8
	s_wait_alu 0xfffe
	v_rcp_iflag_f32_e32 v1, s2
	s_sub_co_i32 s9, s9, s26
	s_sub_co_i32 s18, 0, s16
	s_mul_i32 s8, s9, s8
	s_mov_b32 s2, s25
	s_add_co_i32 s8, s8, s4
	s_mov_b32 s11, 0x31004000
	s_abs_i32 s9, s8
	s_wait_alu 0xfffe
	s_mov_b32 s19, s11
	v_readfirstlane_b32 s17, v1
	v_lshrrev_b32_e32 v1, 4, v0
	s_mul_f32 s17, s17, 0x4f7ffffe
	s_delay_alu instid0(VALU_DEP_1) | instskip(NEXT) | instid1(SALU_CYCLE_2)
	v_and_b32_e32 v133, 14, v1
	s_cvt_u32_f32 s17, s17
	s_delay_alu instid0(VALU_DEP_1) | instskip(NEXT) | instid1(SALU_CYCLE_2)
	v_mul_lo_u32 v1, v133, s20
	s_mul_i32 s18, s18, s17
	s_delay_alu instid0(SALU_CYCLE_1) | instskip(NEXT) | instid1(SALU_CYCLE_1)
	s_mul_hi_u32 s4, s17, s18
	s_add_co_i32 s17, s17, s4
	s_delay_alu instid0(SALU_CYCLE_1)
	s_mul_hi_u32 s4, s9, s17
	s_xor_b32 s17, s8, s10
	s_mul_i32 s18, s4, s16
	s_ashr_i32 s17, s17, 31
	s_sub_co_i32 s9, s9, s18
	s_add_co_i32 s18, s4, 1
	s_sub_co_i32 s24, s9, s16
	s_cmp_ge_u32 s9, s16
	v_lshlrev_b32_e32 v1, 1, v1
	s_cselect_b32 s4, s18, s4
	s_cselect_b32 s9, s24, s9
	s_add_co_i32 s18, s4, 1
	s_cmp_ge_u32 s9, s16
	s_mov_b32 s24, s7
	s_cselect_b32 s4, s18, s4
	s_delay_alu instid0(SALU_CYCLE_1) | instskip(NEXT) | instid1(SALU_CYCLE_1)
	s_xor_b32 s4, s4, s17
	s_sub_co_i32 s4, s4, s17
	s_mul_u64 s[16:17], s[22:23], s[24:25]
	s_mul_i32 s9, s4, s10
	s_mov_b32 s24, s20
	s_sub_co_i32 s9, s8, s9
	s_mul_u64 s[2:3], s[2:3], s[24:25]
	s_add_co_i32 s26, s26, s9
	s_lshl_b32 s2, s4, 7
	v_lshl_or_b32 v138, s26, 8, v131
	s_wait_alu 0xfffe
	v_add3_u32 v1, v1, v134, s2
	s_add_co_i32 s2, s5, s3
	s_lshl_b32 s3, s20, 1
	s_wait_alu 0xfffe
	s_lshl_b32 s2, s2, 1
	v_mul_lo_u32 v157, v138, s7
	v_add_nc_u32_e32 v3, s20, v1
	v_add_lshl_u32 v6, s3, v1, 1
	v_lshlrev_b32_e32 v1, 1, v1
	s_wait_kmcnt 0x0
	s_mov_b32 s16, s14
	s_add_co_i32 s6, s6, s17
	v_add_lshl_u32 v5, v3, s3, 1
	s_and_b32 s17, s15, 0xffff
	v_add_nc_u32_e32 v2, v157, v137
	s_wait_alu 0xfffe
	s_mov_b32 s18, s2
	v_lshlrev_b32_e32 v3, 1, v3
	s_clause 0x3
	buffer_load_b64 v[159:160], v5, s[16:19], null offen
	buffer_load_b64 v[161:162], v6, s[16:19], null offen
	;; [unrolled: 1-line block ×4, first 2 shown]
	v_add_nc_u32_e32 v4, s7, v2
	v_lshlrev_b32_e32 v158, 1, v2
	s_mov_b32 s8, s12
	s_and_b32 s9, s13, 0xffff
	s_lshl_b32 s10, s6, 1
	v_add_nc_u32_e32 v7, s7, v4
	v_lshlrev_b32_e32 v1, 1, v4
	s_load_b64 s[18:19], s[0:1], 0x58
	s_ashr_i32 s1, s27, 31
	s_mul_i32 s15, s20, 0x46
	v_lshlrev_b32_e32 v2, 1, v7
	v_add_lshl_u32 v3, v7, s7, 1
	s_clause 0x3
	buffer_load_b128 v[141:144], v158, s[8:11], null offen
	buffer_load_b128 v[145:148], v1, s[8:11], null offen
	;; [unrolled: 1-line block ×4, first 2 shown]
	v_mov_b32_e32 v1, 0
	v_and_b32_e32 v135, 16, v0
	v_and_b32_e32 v130, 15, v0
	;; [unrolled: 1-line block ×3, first 2 shown]
	v_mul_u32_u24_e32 v168, 0x1010, v132
	v_dual_mov_b32 v13, v1 :: v_dual_mov_b32 v14, v1
	v_lshrrev_b32_e32 v167, 3, v135
	v_dual_mov_b32 v2, v1 :: v_dual_lshlrev_b32 v169, 4, v130
	v_dual_mov_b32 v15, v1 :: v_dual_mov_b32 v128, v1
	v_lshlrev_b32_e32 v131, 4, v131
	s_delay_alu instid0(VALU_DEP_3)
	v_lshl_or_b32 v136, v136, 1, v169
	v_mul_u32_u24_e32 v167, 0x1010, v167
	v_mov_b32_e32 v6, v1
	v_lshlrev_b32_e32 v172, 9, v133
	v_mad_u32_u24 v173, 0x1010, v132, v131
	v_add_nc_u32_e32 v133, v168, v131
	v_add_nc_u32_e32 v131, v136, v167
	v_mul_lo_u32 v136, s20, v139
	v_dual_mov_b32 v17, v1 :: v_dual_and_b32 v140, 31, v0
	v_or_b32_e32 v139, 3, v138
	v_dual_mov_b32 v16, v1 :: v_dual_and_b32 v129, 0x60, v0
	v_mov_b32_e32 v4, v1
	v_mul_i32_i24_e32 v170, -12, v130
	v_add_lshl_u32 v136, v136, v140, 3
	v_or_b32_e32 v140, 2, v138
	v_mad_co_u64_u32 v[138:139], null, s7, v139, v[137:138]
	v_lshlrev_b32_e32 v171, 1, v129
	v_lshlrev_b32_e32 v135, 8, v135
	v_dual_mov_b32 v5, v1 :: v_dual_lshlrev_b32 v134, 2, v134
	s_lshr_b32 s1, s1, 30
	s_delay_alu instid0(VALU_DEP_3) | instskip(SKIP_3) | instid1(VALU_DEP_3)
	v_add3_u32 v132, v169, v170, v171
	v_mad_co_u64_u32 v[139:140], null, s7, v140, v[137:138]
	v_add3_u32 v140, v157, s7, v137
	s_add_co_i32 s27, s27, s1
	v_add_nc_u32_e32 v132, v132, v135
	s_wait_alu 0xfffe
	s_ashr_i32 s13, s27, 2
	v_mov_b32_e32 v3, v1
	v_dual_mov_b32 v7, v1 :: v_dual_mov_b32 v8, v1
	v_dual_mov_b32 v9, v1 :: v_dual_mov_b32 v10, v1
	;; [unrolled: 1-line block ×58, first 2 shown]
	v_or_b32_e32 v168, v172, v134
	v_add_nc_u32_e32 v134, v172, v134
	v_add_nc_u32_e32 v135, 48, v132
	v_lshl_add_u32 v137, v138, 1, 64
	v_lshl_add_u32 v138, v139, 1, 64
	;; [unrolled: 1-line block ×3, first 2 shown]
	v_add_nc_u32_e32 v140, 64, v158
	s_mul_i32 s8, s20, 0x44
	s_mul_i32 s16, s20, 0x42
	s_lshl_b32 s6, s20, 6
	s_mov_b32 s1, s17
	s_lshl_b32 s17, s4, 8
	s_max_i32 s20, s13, 2
	s_mov_b32 s3, s11
	s_mov_b32 s0, s14
	s_add_co_i32 s13, s17, s8
	s_add_co_i32 s14, s17, s15
	;; [unrolled: 1-line block ×3, first 2 shown]
	s_wait_alu 0xfffe
	s_add_co_i32 s7, s17, s6
	s_add_co_i32 s16, s20, -1
	s_mov_b32 s8, s12
	s_wait_loadcnt 0x6
	v_perm_b32 v157, v159, v161, 0x5040100
	v_perm_b32 v158, v159, v161, 0x7060302
	v_perm_b32 v159, v160, v162, 0x5040100
	v_perm_b32 v160, v160, v162, 0x7060302
	s_wait_loadcnt 0x4
	v_perm_b32 v161, v165, v163, 0x5040100
	v_perm_b32 v162, v165, v163, 0x7060302
	;; [unrolled: 1-line block ×4, first 2 shown]
	s_wait_loadcnt 0x3
	ds_store_b128 v173, v[141:144]
	s_wait_loadcnt 0x2
	ds_store_b128 v173, v[145:148] offset:16
	s_wait_loadcnt 0x1
	ds_store_b128 v173, v[149:152] offset:32
	;; [unrolled: 2-line block ×3, first 2 shown]
	ds_store_b128 v168, v[157:160] offset:16944
	ds_store_b128 v168, v[161:164] offset:16432
.LBB3_1:                                ; =>This Inner Loop Header: Depth=1
	s_wait_alu 0xfffe
	v_add_nc_u32_e32 v157, s7, v136
	v_add_nc_u32_e32 v158, s15, v136
	;; [unrolled: 1-line block ×4, first 2 shown]
	s_clause 0x3
	buffer_load_b128 v[141:144], v140, s[8:11], null offen
	buffer_load_b128 v[145:148], v139, s[8:11], null offen
	;; [unrolled: 1-line block ×4, first 2 shown]
	s_wait_dscnt 0x0
	s_barrier_signal -1
	s_barrier_wait -1
	s_clause 0x3
	buffer_load_b64 v[233:234], v157, s[0:3], null offen
	buffer_load_b64 v[235:236], v158, s[0:3], null offen
	;; [unrolled: 1-line block ×4, first 2 shown]
	ds_load_b128 v[157:160], v131
	ds_load_b128 v[161:164], v131 offset:512
	ds_load_b128 v[165:168], v131 offset:4112
	;; [unrolled: 1-line block ×15, first 2 shown]
	ds_load_2addr_stride64_b32 v[241:242], v135 offset0:64 offset1:65
	ds_load_2addr_stride64_b32 v[221:222], v135 offset0:66 offset1:67
	;; [unrolled: 1-line block ×8, first 2 shown]
	; sched_barrier mask(0x00000000)
	;;#ASMSTART
		        s_barrier_signal -1 
 		s_barrier_wait -1 		
	;;#ASMEND
	; sched_barrier mask(0x00000000)
	s_wait_dscnt 0x6
	v_dual_mov_b32 v229, v241 :: v_dual_mov_b32 v230, v221
	s_wait_dscnt 0x4
	v_dual_mov_b32 v231, v243 :: v_dual_mov_b32 v232, v223
	s_delay_alu instid0(VALU_DEP_1)
	v_wmma_f32_16x16x16_f16 v[121:128], v[157:160], v[229:232], v[121:128]
	; sched_barrier mask(0x00000000)
	s_setprio 1
	; sched_barrier mask(0x00000000)
	v_mov_b32_e32 v221, v242
	v_mov_b32_e32 v223, v244
	v_wmma_f32_16x16x16_f16 v[105:112], v[161:164], v[229:232], v[105:112]
	v_wmma_f32_16x16x16_f16 v[89:96], v[173:176], v[229:232], v[89:96]
	;; [unrolled: 1-line block ×7, first 2 shown]
	s_wait_dscnt 0x2
	v_dual_mov_b32 v157, v245 :: v_dual_mov_b32 v158, v225
	s_wait_dscnt 0x0
	v_dual_mov_b32 v159, v247 :: v_dual_mov_b32 v160, v227
	v_wmma_f32_16x16x16_f16 v[97:104], v[161:164], v[221:224], v[97:104]
	v_wmma_f32_16x16x16_f16 v[81:88], v[173:176], v[221:224], v[81:88]
	;; [unrolled: 1-line block ×5, first 2 shown]
	v_mov_b32_e32 v225, v246
	v_mov_b32_e32 v227, v248
	v_wmma_f32_16x16x16_f16 v[17:24], v[205:208], v[221:224], v[17:24]
	v_wmma_f32_16x16x16_f16 v[9:16], v[209:212], v[229:232], v[9:16]
	v_wmma_f32_16x16x16_f16 v[1:8], v[209:212], v[221:224], v[1:8]
	v_wmma_f32_16x16x16_f16 v[121:128], v[165:168], v[157:160], v[121:128]
	v_wmma_f32_16x16x16_f16 v[113:120], v[165:168], v[225:228], v[113:120]
	v_wmma_f32_16x16x16_f16 v[105:112], v[169:172], v[157:160], v[105:112]
	v_wmma_f32_16x16x16_f16 v[97:104], v[169:172], v[225:228], v[97:104]
	v_wmma_f32_16x16x16_f16 v[89:96], v[181:184], v[157:160], v[89:96]
	v_wmma_f32_16x16x16_f16 v[81:88], v[181:184], v[225:228], v[81:88]
	v_wmma_f32_16x16x16_f16 v[73:80], v[185:188], v[157:160], v[73:80]
	v_wmma_f32_16x16x16_f16 v[65:72], v[185:188], v[225:228], v[65:72]
	v_wmma_f32_16x16x16_f16 v[57:64], v[197:200], v[157:160], v[57:64]
	v_wmma_f32_16x16x16_f16 v[49:56], v[197:200], v[225:228], v[49:56]
	v_wmma_f32_16x16x16_f16 v[41:48], v[201:204], v[157:160], v[41:48]
	v_wmma_f32_16x16x16_f16 v[33:40], v[201:204], v[225:228], v[33:40]
	v_wmma_f32_16x16x16_f16 v[25:32], v[213:216], v[157:160], v[25:32]
	v_wmma_f32_16x16x16_f16 v[17:24], v[213:216], v[225:228], v[17:24]
	v_wmma_f32_16x16x16_f16 v[9:16], v[217:220], v[157:160], v[9:16]
	; sched_barrier mask(0x00000000)
	s_wait_dscnt 0x0
	s_barrier_signal -1
	s_barrier_wait -1
	; sched_barrier mask(0x00000000)
	v_wmma_f32_16x16x16_f16 v[1:8], v[217:220], v[225:228], v[1:8]
	; sched_barrier mask(0x00000000)
	s_setprio 0
	; sched_barrier mask(0x00000000)
	s_wait_loadcnt 0x7
	ds_store_b128 v133, v[141:144]
	s_wait_loadcnt 0x6
	ds_store_b128 v133, v[145:148] offset:16
	s_wait_loadcnt 0x5
	ds_store_b128 v133, v[149:152] offset:32
	;; [unrolled: 2-line block ×3, first 2 shown]
	s_wait_loadcnt 0x0
	v_perm_b32 v145, v237, v239, 0x5040100
	v_perm_b32 v146, v237, v239, 0x7060302
	;; [unrolled: 1-line block ×4, first 2 shown]
	v_add_nc_u32_e32 v137, 64, v137
	v_add_nc_u32_e32 v138, 64, v138
	;; [unrolled: 1-line block ×4, first 2 shown]
	v_perm_b32 v141, v235, v233, 0x5040100
	v_perm_b32 v142, v235, v233, 0x7060302
	;; [unrolled: 1-line block ×4, first 2 shown]
	s_add_co_i32 s16, s16, -1
	s_add_co_i32 s13, s13, s6
	s_add_co_i32 s14, s14, s6
	;; [unrolled: 1-line block ×4, first 2 shown]
	s_cmp_lg_u32 s16, 0
	ds_store_b128 v134, v[145:148] offset:16944
	ds_store_b128 v134, v[141:144] offset:16432
	s_cbranch_scc1 .LBB3_1
; %bb.2:
	v_add_nc_u32_e32 v203, 48, v132
	s_wait_dscnt 0x0
	s_barrier_signal -1
	s_barrier_wait -1
	ds_load_b128 v[133:136], v131
	ds_load_b128 v[137:140], v131 offset:512
	ds_load_b128 v[141:144], v131 offset:4112
	;; [unrolled: 1-line block ×15, first 2 shown]
	ds_load_2addr_stride64_b32 v[131:132], v203 offset0:64 offset1:65
	ds_load_2addr_stride64_b32 v[197:198], v203 offset0:66 offset1:67
	;; [unrolled: 1-line block ×8, first 2 shown]
	s_mov_b32 s1, 0
	s_mov_b32 s0, s21
	s_delay_alu instid0(SALU_CYCLE_1)
	s_mul_u64 s[0:1], s[22:23], s[0:1]
	; sched_barrier mask(0x00000000)
	;;#ASMSTART
		        s_barrier_signal -1 
 		s_barrier_wait -1 		
	;;#ASMEND
	; sched_barrier mask(0x00000000)
	s_wait_dscnt 0x6
	v_dual_mov_b32 v205, v131 :: v_dual_mov_b32 v206, v197
	s_wait_dscnt 0x4
	v_dual_mov_b32 v207, v208 :: v_dual_mov_b32 v208, v199
	s_delay_alu instid0(VALU_DEP_1)
	v_wmma_f32_16x16x16_f16 v[121:128], v[133:136], v[205:208], v[121:128]
	; sched_barrier mask(0x00000000)
	s_setprio 1
	; sched_barrier mask(0x00000000)
	s_wait_dscnt 0x2
	v_dual_mov_b32 v197, v132 :: v_dual_mov_b32 v132, v201
	v_mov_b32_e32 v199, v209
	v_wmma_f32_16x16x16_f16 v[105:112], v[137:140], v[205:208], v[105:112]
	v_wmma_f32_16x16x16_f16 v[89:96], v[149:152], v[205:208], v[89:96]
	;; [unrolled: 1-line block ×7, first 2 shown]
	v_mov_b32_e32 v131, v210
	s_wait_dscnt 0x0
	v_dual_mov_b32 v133, v212 :: v_dual_mov_b32 v134, v203
	v_wmma_f32_16x16x16_f16 v[97:104], v[137:140], v[197:200], v[97:104]
	v_wmma_f32_16x16x16_f16 v[81:88], v[149:152], v[197:200], v[81:88]
	;; [unrolled: 1-line block ×5, first 2 shown]
	v_mov_b32_e32 v201, v211
	v_mov_b32_e32 v203, v213
	v_wmma_f32_16x16x16_f16 v[17:24], v[181:184], v[197:200], v[17:24]
	v_wmma_f32_16x16x16_f16 v[9:16], v[185:188], v[205:208], v[9:16]
	;; [unrolled: 1-line block ×18, first 2 shown]
	; sched_barrier mask(0x00000000)
	s_wait_dscnt 0x0
	s_barrier_signal -1
	s_barrier_wait -1
	; sched_barrier mask(0x00000000)
	v_wmma_f32_16x16x16_f16 v[1:8], v[193:196], v[201:204], v[1:8]
	; sched_barrier mask(0x00000000)
	s_setprio 0
	; sched_barrier mask(0x00000000)
	v_lshrrev_b32_e32 v131, 1, v0
	v_lshrrev_b32_e32 v132, 3, v0
	v_lshlrev_b32_e32 v0, 3, v0
	v_cvt_f16_f32_e64 v133, v122
	v_lshlrev_b32_e32 v130, 1, v130
	v_and_b32_e32 v131, 8, v131
	v_cvt_f16_f32_e32 v125, v125
	v_cvt_f16_f32_e32 v126, v126
	;; [unrolled: 1-line block ×3, first 2 shown]
	v_cvt_f16_f32_e64 v128, v128
	v_and_or_b32 v122, v132, 16, v131
	v_and_b32_e32 v131, 0x78, v0
	v_cvt_f16_f32_e32 v120, v120
	v_cvt_f16_f32_e32 v117, v117
	s_wait_dscnt 0x0
	v_lshlrev_b32_e32 v0, 8, v122
	s_barrier_signal -1
	s_barrier_wait -1
	v_and_b32_e32 v132, 30, v132
	v_cvt_f16_f32_e32 v119, v119
	v_or3_b32 v0, v129, v0, v130
	v_cvt_f16_f32_e32 v118, v118
	v_cvt_f16_f32_e32 v121, v121
	;; [unrolled: 1-line block ×4, first 2 shown]
	ds_store_b16 v0, v125 offset:1024
	ds_store_b16 v0, v126 offset:1280
	;; [unrolled: 1-line block ×8, first 2 shown]
	v_lshlrev_b32_e32 v117, 1, v131
	v_cvt_f16_f32_e32 v118, v113
	v_lshl_or_b32 v122, s4, 7, v131
	v_lshl_or_b32 v134, s26, 8, v132
	v_cvt_f16_f32_e32 v116, v116
	v_lshl_or_b32 v113, v132, 8, v117
	v_cvt_f16_f32_e32 v115, v115
	v_cvt_f16_f32_e32 v114, v114
	ds_store_b16 v0, v121
	ds_store_b16 v0, v133 offset:256
	ds_store_b16 v0, v123 offset:512
	;; [unrolled: 1-line block ×7, first 2 shown]
	s_wait_dscnt 0x0
	s_barrier_signal -1
	s_barrier_wait -1
	ds_load_b128 v[114:117], v113
	ds_load_b128 v[118:121], v113 offset:256
	v_mad_co_u64_u32 v[122:123], null, v134, s21, v[122:123]
	v_cvt_f16_f32_e32 v105, v105
	v_cvt_f16_f32_e32 v109, v109
	s_add_co_i32 s0, s5, s1
	v_cvt_f16_f32_e32 v106, v106
	v_cvt_f16_f32_e32 v110, v110
	;; [unrolled: 1-line block ×3, first 2 shown]
	v_add_nc_u32_e32 v123, 4, v122
	v_add_nc_u32_e32 v124, s21, v122
	v_lshlrev_b32_e32 v122, 1, v122
	v_cvt_f16_f32_e32 v111, v111
	s_lshl_b32 s2, s0, 1
	v_lshlrev_b32_e32 v125, 1, v123
	v_add_lshl_u32 v123, v123, s21, 1
	s_wait_kmcnt 0x0
	s_and_b32 s1, s19, 0xffff
	s_mov_b32 s3, 0x31004000
	s_mov_b32 s0, s18
	v_lshlrev_b32_e32 v126, 1, v124
	v_cvt_f16_f32_e32 v108, v108
	v_cvt_f16_f32_e32 v112, v112
	v_cvt_f16_f32_e32 v104, v104
	v_cvt_f16_f32_e32 v103, v103
	v_cvt_f16_f32_e32 v102, v102
	v_cvt_f16_f32_e32 v101, v101
	v_cvt_f16_f32_e32 v100, v100
	v_cvt_f16_f32_e32 v99, v99
	v_cvt_f16_f32_e32 v98, v98
	v_cvt_f16_f32_e32 v97, v97
	s_wait_dscnt 0x1
	s_clause 0x1
	buffer_store_b64 v[114:115], v122, s[0:3], null offen
	buffer_store_b64 v[116:117], v125, s[0:3], null offen
	s_wait_dscnt 0x0
	s_clause 0x1
	buffer_store_b64 v[120:121], v123, s[0:3], null offen
	buffer_store_b64 v[118:119], v126, s[0:3], null offen
	s_wait_dscnt 0x0
	s_barrier_signal -1
	s_barrier_wait -1
	ds_store_b16 v0, v109 offset:1024
	ds_store_b16 v0, v110 offset:1280
	ds_store_b16 v0, v111 offset:1536
	ds_store_b16 v0, v112 offset:1792
	ds_store_b16 v0, v104 offset:1920
	ds_store_b16 v0, v103 offset:1664
	ds_store_b16 v0, v102 offset:1408
	ds_store_b16 v0, v101 offset:1152
	ds_store_b16 v0, v105
	ds_store_b16 v0, v106 offset:256
	ds_store_b16 v0, v107 offset:512
	;; [unrolled: 1-line block ×7, first 2 shown]
	s_wait_dscnt 0x0
	s_barrier_signal -1
	s_barrier_wait -1
	ds_load_b128 v[97:100], v113
	ds_load_b128 v[101:104], v113 offset:256
	s_mul_i32 s4, s21, 31
	v_cvt_f16_f32_e32 v89, v89
	s_wait_alu 0xfffe
	v_add_nc_u32_e32 v105, s4, v124
	v_cvt_f16_f32_e32 v93, v93
	v_cvt_f16_f32_e32 v90, v90
	;; [unrolled: 1-line block ×4, first 2 shown]
	v_add_nc_u32_e32 v106, 4, v105
	v_add_nc_u32_e32 v107, s21, v105
	v_lshlrev_b32_e32 v105, 1, v105
	v_cvt_f16_f32_e32 v95, v95
	v_cvt_f16_f32_e32 v92, v92
	v_lshlrev_b32_e32 v108, 1, v106
	v_add_lshl_u32 v106, v106, s21, 1
	v_lshlrev_b32_e32 v109, 1, v107
	v_cvt_f16_f32_e32 v96, v96
	v_cvt_f16_f32_e32 v88, v88
	v_cvt_f16_f32_e32 v87, v87
	v_cvt_f16_f32_e32 v86, v86
	v_cvt_f16_f32_e32 v85, v85
	v_cvt_f16_f32_e32 v84, v84
	v_cvt_f16_f32_e32 v83, v83
	v_cvt_f16_f32_e32 v82, v82
	v_cvt_f16_f32_e32 v81, v81
	s_wait_dscnt 0x1
	s_clause 0x1
	buffer_store_b64 v[97:98], v105, s[0:3], null offen
	buffer_store_b64 v[99:100], v108, s[0:3], null offen
	s_wait_dscnt 0x0
	s_clause 0x1
	buffer_store_b64 v[103:104], v106, s[0:3], null offen
	buffer_store_b64 v[101:102], v109, s[0:3], null offen
	s_wait_dscnt 0x0
	s_barrier_signal -1
	s_barrier_wait -1
	ds_store_b16 v0, v93 offset:1024
	ds_store_b16 v0, v94 offset:1280
	ds_store_b16 v0, v95 offset:1536
	ds_store_b16 v0, v96 offset:1792
	ds_store_b16 v0, v88 offset:1920
	ds_store_b16 v0, v87 offset:1664
	ds_store_b16 v0, v86 offset:1408
	ds_store_b16 v0, v85 offset:1152
	ds_store_b16 v0, v89
	ds_store_b16 v0, v90 offset:256
	ds_store_b16 v0, v91 offset:512
	ds_store_b16 v0, v92 offset:768
	ds_store_b16 v0, v84 offset:896
	ds_store_b16 v0, v83 offset:640
	ds_store_b16 v0, v82 offset:384
	ds_store_b16 v0, v81 offset:128
	s_wait_dscnt 0x0
	s_barrier_signal -1
	s_barrier_wait -1
	ds_load_b128 v[81:84], v113
	ds_load_b128 v[85:88], v113 offset:256
	v_add_nc_u32_e32 v89, s4, v107
	v_cvt_f16_f32_e32 v73, v73
	v_cvt_f16_f32_e32 v77, v77
	v_cvt_f16_f32_e32 v74, v74
	v_cvt_f16_f32_e32 v78, v78
	v_add_nc_u32_e32 v90, 4, v89
	v_add_nc_u32_e32 v91, s21, v89
	v_lshlrev_b32_e32 v89, 1, v89
	v_cvt_f16_f32_e32 v75, v75
	v_cvt_f16_f32_e32 v79, v79
	v_lshlrev_b32_e32 v92, 1, v90
	v_add_lshl_u32 v90, v90, s21, 1
	v_lshlrev_b32_e32 v93, 1, v91
	v_cvt_f16_f32_e32 v76, v76
	v_cvt_f16_f32_e32 v80, v80
	v_cvt_f16_f32_e32 v72, v72
	v_cvt_f16_f32_e32 v71, v71
	v_cvt_f16_f32_e32 v70, v70
	v_cvt_f16_f32_e32 v69, v69
	v_cvt_f16_f32_e32 v68, v68
	v_cvt_f16_f32_e32 v67, v67
	v_cvt_f16_f32_e32 v66, v66
	v_cvt_f16_f32_e32 v65, v65
	s_wait_dscnt 0x1
	s_clause 0x1
	buffer_store_b64 v[81:82], v89, s[0:3], null offen
	buffer_store_b64 v[83:84], v92, s[0:3], null offen
	s_wait_dscnt 0x0
	s_clause 0x1
	buffer_store_b64 v[87:88], v90, s[0:3], null offen
	buffer_store_b64 v[85:86], v93, s[0:3], null offen
	s_wait_dscnt 0x0
	s_barrier_signal -1
	s_barrier_wait -1
	ds_store_b16 v0, v77 offset:1024
	ds_store_b16 v0, v78 offset:1280
	ds_store_b16 v0, v79 offset:1536
	ds_store_b16 v0, v80 offset:1792
	ds_store_b16 v0, v72 offset:1920
	ds_store_b16 v0, v71 offset:1664
	ds_store_b16 v0, v70 offset:1408
	ds_store_b16 v0, v69 offset:1152
	ds_store_b16 v0, v73
	ds_store_b16 v0, v74 offset:256
	ds_store_b16 v0, v75 offset:512
	ds_store_b16 v0, v76 offset:768
	ds_store_b16 v0, v68 offset:896
	ds_store_b16 v0, v67 offset:640
	ds_store_b16 v0, v66 offset:384
	ds_store_b16 v0, v65 offset:128
	s_wait_dscnt 0x0
	s_barrier_signal -1
	s_barrier_wait -1
	ds_load_b128 v[65:68], v113
	ds_load_b128 v[69:72], v113 offset:256
	v_add_nc_u32_e32 v73, s4, v91
	v_cvt_f16_f32_e32 v57, v57
	v_cvt_f16_f32_e32 v61, v61
	v_cvt_f16_f32_e32 v58, v58
	v_cvt_f16_f32_e32 v62, v62
	v_add_nc_u32_e32 v74, 4, v73
	v_add_nc_u32_e32 v75, s21, v73
	v_lshlrev_b32_e32 v73, 1, v73
	v_cvt_f16_f32_e32 v59, v59
	v_cvt_f16_f32_e32 v63, v63
	v_lshlrev_b32_e32 v76, 1, v74
	v_add_lshl_u32 v74, v74, s21, 1
	v_lshlrev_b32_e32 v77, 1, v75
	v_cvt_f16_f32_e32 v60, v60
	;; [unrolled: 55-line block ×5, first 2 shown]
	v_cvt_f16_f32_e32 v16, v16
	v_cvt_f16_f32_e32 v8, v8
	v_cvt_f16_f32_e32 v7, v7
	v_cvt_f16_f32_e32 v6, v6
	v_cvt_f16_f32_e32 v5, v5
	v_cvt_f16_f32_e32 v4, v4
	v_cvt_f16_f32_e32 v3, v3
	v_cvt_f16_f32_e32 v2, v2
	v_cvt_f16_f32_e32 v1, v1
	s_wait_dscnt 0x1
	s_clause 0x1
	buffer_store_b64 v[17:18], v25, s[0:3], null offen
	buffer_store_b64 v[19:20], v28, s[0:3], null offen
	s_wait_dscnt 0x0
	s_clause 0x1
	buffer_store_b64 v[23:24], v26, s[0:3], null offen
	buffer_store_b64 v[21:22], v29, s[0:3], null offen
	s_wait_dscnt 0x0
	s_barrier_signal -1
	s_barrier_wait -1
	ds_store_b16 v0, v13 offset:1024
	ds_store_b16 v0, v14 offset:1280
	;; [unrolled: 1-line block ×8, first 2 shown]
	ds_store_b16 v0, v9
	ds_store_b16 v0, v10 offset:256
	ds_store_b16 v0, v11 offset:512
	;; [unrolled: 1-line block ×7, first 2 shown]
	s_wait_dscnt 0x0
	s_barrier_signal -1
	s_barrier_wait -1
	ds_load_b128 v[0:3], v113
	ds_load_b128 v[4:7], v113 offset:256
	v_add_nc_u32_e32 v8, s4, v27
	s_delay_alu instid0(VALU_DEP_1) | instskip(SKIP_2) | instid1(VALU_DEP_3)
	v_add_nc_u32_e32 v9, 4, v8
	v_lshlrev_b32_e32 v10, 1, v8
	v_add_lshl_u32 v8, v8, s21, 1
	v_lshlrev_b32_e32 v11, 1, v9
	v_add_lshl_u32 v9, v9, s21, 1
	s_wait_dscnt 0x1
	s_clause 0x1
	buffer_store_b64 v[0:1], v10, s[0:3], null offen
	buffer_store_b64 v[2:3], v11, s[0:3], null offen
	s_wait_dscnt 0x0
	s_clause 0x1
	buffer_store_b64 v[6:7], v9, s[0:3], null offen
	buffer_store_b64 v[4:5], v8, s[0:3], null offen
	s_nop 0
	s_sendmsg sendmsg(MSG_DEALLOC_VGPRS)
	s_endpgm
	.section	.rodata,"a",@progbits
	.p2align	6, 0x0
	.amdhsa_kernel _ZN2ck27kernel_gemm_xdl_cshuffle_v1INS_43GridwiseGemm_k0mk1_k0nk1_mn_xdl_cshuffle_v1INS_13tensor_layout4gemm8RowMajorES4_S4_DF16_DF16_fDF16_DF16_NS_16tensor_operation12element_wise11PassThroughES7_S7_LNS5_6device18GemmSpecializationE0ELNS_25InMemoryDataOperationEnumE0ELi1ELi256ELi256ELi128ELi32ELi8ELi2ELi16ELi16ELi8ELi2ENS_8SequenceIJLi4ELi64ELi1EEEENSB_IJLi1ELi0ELi2EEEESD_Li2ELi8ELi8ELb0ELi1ENSB_IJLi8ELi32ELi1EEEENSB_IJLi0ELi2ELi1EEEESF_Li1ELi4ELi2ELb0ELi0ELi1ELi2ENSB_IJLi1ELi16ELi1ELi16EEEELi4ELNS_13LoopSchedulerE1ELNS_15PipelineVersionE0EDF16_DF16_EELb1EEEvNT_8ArgumentE
		.amdhsa_group_segment_fixed_size 24624
		.amdhsa_private_segment_fixed_size 0
		.amdhsa_kernarg_size 96
		.amdhsa_user_sgpr_count 2
		.amdhsa_user_sgpr_dispatch_ptr 0
		.amdhsa_user_sgpr_queue_ptr 0
		.amdhsa_user_sgpr_kernarg_segment_ptr 1
		.amdhsa_user_sgpr_dispatch_id 0
		.amdhsa_user_sgpr_private_segment_size 0
		.amdhsa_wavefront_size32 1
		.amdhsa_uses_dynamic_stack 0
		.amdhsa_enable_private_segment 0
		.amdhsa_system_sgpr_workgroup_id_x 1
		.amdhsa_system_sgpr_workgroup_id_y 0
		.amdhsa_system_sgpr_workgroup_id_z 0
		.amdhsa_system_sgpr_workgroup_info 0
		.amdhsa_system_vgpr_workitem_id 0
		.amdhsa_next_free_vgpr 249
		.amdhsa_next_free_sgpr 28
		.amdhsa_reserve_vcc 0
		.amdhsa_float_round_mode_32 0
		.amdhsa_float_round_mode_16_64 0
		.amdhsa_float_denorm_mode_32 3
		.amdhsa_float_denorm_mode_16_64 3
		.amdhsa_fp16_overflow 0
		.amdhsa_workgroup_processor_mode 1
		.amdhsa_memory_ordered 1
		.amdhsa_forward_progress 1
		.amdhsa_inst_pref_size 49
		.amdhsa_round_robin_scheduling 0
		.amdhsa_exception_fp_ieee_invalid_op 0
		.amdhsa_exception_fp_denorm_src 0
		.amdhsa_exception_fp_ieee_div_zero 0
		.amdhsa_exception_fp_ieee_overflow 0
		.amdhsa_exception_fp_ieee_underflow 0
		.amdhsa_exception_fp_ieee_inexact 0
		.amdhsa_exception_int_div_zero 0
	.end_amdhsa_kernel
	.section	.text._ZN2ck27kernel_gemm_xdl_cshuffle_v1INS_43GridwiseGemm_k0mk1_k0nk1_mn_xdl_cshuffle_v1INS_13tensor_layout4gemm8RowMajorES4_S4_DF16_DF16_fDF16_DF16_NS_16tensor_operation12element_wise11PassThroughES7_S7_LNS5_6device18GemmSpecializationE0ELNS_25InMemoryDataOperationEnumE0ELi1ELi256ELi256ELi128ELi32ELi8ELi2ELi16ELi16ELi8ELi2ENS_8SequenceIJLi4ELi64ELi1EEEENSB_IJLi1ELi0ELi2EEEESD_Li2ELi8ELi8ELb0ELi1ENSB_IJLi8ELi32ELi1EEEENSB_IJLi0ELi2ELi1EEEESF_Li1ELi4ELi2ELb0ELi0ELi1ELi2ENSB_IJLi1ELi16ELi1ELi16EEEELi4ELNS_13LoopSchedulerE1ELNS_15PipelineVersionE0EDF16_DF16_EELb1EEEvNT_8ArgumentE,"axG",@progbits,_ZN2ck27kernel_gemm_xdl_cshuffle_v1INS_43GridwiseGemm_k0mk1_k0nk1_mn_xdl_cshuffle_v1INS_13tensor_layout4gemm8RowMajorES4_S4_DF16_DF16_fDF16_DF16_NS_16tensor_operation12element_wise11PassThroughES7_S7_LNS5_6device18GemmSpecializationE0ELNS_25InMemoryDataOperationEnumE0ELi1ELi256ELi256ELi128ELi32ELi8ELi2ELi16ELi16ELi8ELi2ENS_8SequenceIJLi4ELi64ELi1EEEENSB_IJLi1ELi0ELi2EEEESD_Li2ELi8ELi8ELb0ELi1ENSB_IJLi8ELi32ELi1EEEENSB_IJLi0ELi2ELi1EEEESF_Li1ELi4ELi2ELb0ELi0ELi1ELi2ENSB_IJLi1ELi16ELi1ELi16EEEELi4ELNS_13LoopSchedulerE1ELNS_15PipelineVersionE0EDF16_DF16_EELb1EEEvNT_8ArgumentE,comdat
.Lfunc_end3:
	.size	_ZN2ck27kernel_gemm_xdl_cshuffle_v1INS_43GridwiseGemm_k0mk1_k0nk1_mn_xdl_cshuffle_v1INS_13tensor_layout4gemm8RowMajorES4_S4_DF16_DF16_fDF16_DF16_NS_16tensor_operation12element_wise11PassThroughES7_S7_LNS5_6device18GemmSpecializationE0ELNS_25InMemoryDataOperationEnumE0ELi1ELi256ELi256ELi128ELi32ELi8ELi2ELi16ELi16ELi8ELi2ENS_8SequenceIJLi4ELi64ELi1EEEENSB_IJLi1ELi0ELi2EEEESD_Li2ELi8ELi8ELb0ELi1ENSB_IJLi8ELi32ELi1EEEENSB_IJLi0ELi2ELi1EEEESF_Li1ELi4ELi2ELb0ELi0ELi1ELi2ENSB_IJLi1ELi16ELi1ELi16EEEELi4ELNS_13LoopSchedulerE1ELNS_15PipelineVersionE0EDF16_DF16_EELb1EEEvNT_8ArgumentE, .Lfunc_end3-_ZN2ck27kernel_gemm_xdl_cshuffle_v1INS_43GridwiseGemm_k0mk1_k0nk1_mn_xdl_cshuffle_v1INS_13tensor_layout4gemm8RowMajorES4_S4_DF16_DF16_fDF16_DF16_NS_16tensor_operation12element_wise11PassThroughES7_S7_LNS5_6device18GemmSpecializationE0ELNS_25InMemoryDataOperationEnumE0ELi1ELi256ELi256ELi128ELi32ELi8ELi2ELi16ELi16ELi8ELi2ENS_8SequenceIJLi4ELi64ELi1EEEENSB_IJLi1ELi0ELi2EEEESD_Li2ELi8ELi8ELb0ELi1ENSB_IJLi8ELi32ELi1EEEENSB_IJLi0ELi2ELi1EEEESF_Li1ELi4ELi2ELb0ELi0ELi1ELi2ENSB_IJLi1ELi16ELi1ELi16EEEELi4ELNS_13LoopSchedulerE1ELNS_15PipelineVersionE0EDF16_DF16_EELb1EEEvNT_8ArgumentE
                                        ; -- End function
	.set _ZN2ck27kernel_gemm_xdl_cshuffle_v1INS_43GridwiseGemm_k0mk1_k0nk1_mn_xdl_cshuffle_v1INS_13tensor_layout4gemm8RowMajorES4_S4_DF16_DF16_fDF16_DF16_NS_16tensor_operation12element_wise11PassThroughES7_S7_LNS5_6device18GemmSpecializationE0ELNS_25InMemoryDataOperationEnumE0ELi1ELi256ELi256ELi128ELi32ELi8ELi2ELi16ELi16ELi8ELi2ENS_8SequenceIJLi4ELi64ELi1EEEENSB_IJLi1ELi0ELi2EEEESD_Li2ELi8ELi8ELb0ELi1ENSB_IJLi8ELi32ELi1EEEENSB_IJLi0ELi2ELi1EEEESF_Li1ELi4ELi2ELb0ELi0ELi1ELi2ENSB_IJLi1ELi16ELi1ELi16EEEELi4ELNS_13LoopSchedulerE1ELNS_15PipelineVersionE0EDF16_DF16_EELb1EEEvNT_8ArgumentE.num_vgpr, 249
	.set _ZN2ck27kernel_gemm_xdl_cshuffle_v1INS_43GridwiseGemm_k0mk1_k0nk1_mn_xdl_cshuffle_v1INS_13tensor_layout4gemm8RowMajorES4_S4_DF16_DF16_fDF16_DF16_NS_16tensor_operation12element_wise11PassThroughES7_S7_LNS5_6device18GemmSpecializationE0ELNS_25InMemoryDataOperationEnumE0ELi1ELi256ELi256ELi128ELi32ELi8ELi2ELi16ELi16ELi8ELi2ENS_8SequenceIJLi4ELi64ELi1EEEENSB_IJLi1ELi0ELi2EEEESD_Li2ELi8ELi8ELb0ELi1ENSB_IJLi8ELi32ELi1EEEENSB_IJLi0ELi2ELi1EEEESF_Li1ELi4ELi2ELb0ELi0ELi1ELi2ENSB_IJLi1ELi16ELi1ELi16EEEELi4ELNS_13LoopSchedulerE1ELNS_15PipelineVersionE0EDF16_DF16_EELb1EEEvNT_8ArgumentE.num_agpr, 0
	.set _ZN2ck27kernel_gemm_xdl_cshuffle_v1INS_43GridwiseGemm_k0mk1_k0nk1_mn_xdl_cshuffle_v1INS_13tensor_layout4gemm8RowMajorES4_S4_DF16_DF16_fDF16_DF16_NS_16tensor_operation12element_wise11PassThroughES7_S7_LNS5_6device18GemmSpecializationE0ELNS_25InMemoryDataOperationEnumE0ELi1ELi256ELi256ELi128ELi32ELi8ELi2ELi16ELi16ELi8ELi2ENS_8SequenceIJLi4ELi64ELi1EEEENSB_IJLi1ELi0ELi2EEEESD_Li2ELi8ELi8ELb0ELi1ENSB_IJLi8ELi32ELi1EEEENSB_IJLi0ELi2ELi1EEEESF_Li1ELi4ELi2ELb0ELi0ELi1ELi2ENSB_IJLi1ELi16ELi1ELi16EEEELi4ELNS_13LoopSchedulerE1ELNS_15PipelineVersionE0EDF16_DF16_EELb1EEEvNT_8ArgumentE.numbered_sgpr, 28
	.set _ZN2ck27kernel_gemm_xdl_cshuffle_v1INS_43GridwiseGemm_k0mk1_k0nk1_mn_xdl_cshuffle_v1INS_13tensor_layout4gemm8RowMajorES4_S4_DF16_DF16_fDF16_DF16_NS_16tensor_operation12element_wise11PassThroughES7_S7_LNS5_6device18GemmSpecializationE0ELNS_25InMemoryDataOperationEnumE0ELi1ELi256ELi256ELi128ELi32ELi8ELi2ELi16ELi16ELi8ELi2ENS_8SequenceIJLi4ELi64ELi1EEEENSB_IJLi1ELi0ELi2EEEESD_Li2ELi8ELi8ELb0ELi1ENSB_IJLi8ELi32ELi1EEEENSB_IJLi0ELi2ELi1EEEESF_Li1ELi4ELi2ELb0ELi0ELi1ELi2ENSB_IJLi1ELi16ELi1ELi16EEEELi4ELNS_13LoopSchedulerE1ELNS_15PipelineVersionE0EDF16_DF16_EELb1EEEvNT_8ArgumentE.num_named_barrier, 0
	.set _ZN2ck27kernel_gemm_xdl_cshuffle_v1INS_43GridwiseGemm_k0mk1_k0nk1_mn_xdl_cshuffle_v1INS_13tensor_layout4gemm8RowMajorES4_S4_DF16_DF16_fDF16_DF16_NS_16tensor_operation12element_wise11PassThroughES7_S7_LNS5_6device18GemmSpecializationE0ELNS_25InMemoryDataOperationEnumE0ELi1ELi256ELi256ELi128ELi32ELi8ELi2ELi16ELi16ELi8ELi2ENS_8SequenceIJLi4ELi64ELi1EEEENSB_IJLi1ELi0ELi2EEEESD_Li2ELi8ELi8ELb0ELi1ENSB_IJLi8ELi32ELi1EEEENSB_IJLi0ELi2ELi1EEEESF_Li1ELi4ELi2ELb0ELi0ELi1ELi2ENSB_IJLi1ELi16ELi1ELi16EEEELi4ELNS_13LoopSchedulerE1ELNS_15PipelineVersionE0EDF16_DF16_EELb1EEEvNT_8ArgumentE.private_seg_size, 0
	.set _ZN2ck27kernel_gemm_xdl_cshuffle_v1INS_43GridwiseGemm_k0mk1_k0nk1_mn_xdl_cshuffle_v1INS_13tensor_layout4gemm8RowMajorES4_S4_DF16_DF16_fDF16_DF16_NS_16tensor_operation12element_wise11PassThroughES7_S7_LNS5_6device18GemmSpecializationE0ELNS_25InMemoryDataOperationEnumE0ELi1ELi256ELi256ELi128ELi32ELi8ELi2ELi16ELi16ELi8ELi2ENS_8SequenceIJLi4ELi64ELi1EEEENSB_IJLi1ELi0ELi2EEEESD_Li2ELi8ELi8ELb0ELi1ENSB_IJLi8ELi32ELi1EEEENSB_IJLi0ELi2ELi1EEEESF_Li1ELi4ELi2ELb0ELi0ELi1ELi2ENSB_IJLi1ELi16ELi1ELi16EEEELi4ELNS_13LoopSchedulerE1ELNS_15PipelineVersionE0EDF16_DF16_EELb1EEEvNT_8ArgumentE.uses_vcc, 0
	.set _ZN2ck27kernel_gemm_xdl_cshuffle_v1INS_43GridwiseGemm_k0mk1_k0nk1_mn_xdl_cshuffle_v1INS_13tensor_layout4gemm8RowMajorES4_S4_DF16_DF16_fDF16_DF16_NS_16tensor_operation12element_wise11PassThroughES7_S7_LNS5_6device18GemmSpecializationE0ELNS_25InMemoryDataOperationEnumE0ELi1ELi256ELi256ELi128ELi32ELi8ELi2ELi16ELi16ELi8ELi2ENS_8SequenceIJLi4ELi64ELi1EEEENSB_IJLi1ELi0ELi2EEEESD_Li2ELi8ELi8ELb0ELi1ENSB_IJLi8ELi32ELi1EEEENSB_IJLi0ELi2ELi1EEEESF_Li1ELi4ELi2ELb0ELi0ELi1ELi2ENSB_IJLi1ELi16ELi1ELi16EEEELi4ELNS_13LoopSchedulerE1ELNS_15PipelineVersionE0EDF16_DF16_EELb1EEEvNT_8ArgumentE.uses_flat_scratch, 0
	.set _ZN2ck27kernel_gemm_xdl_cshuffle_v1INS_43GridwiseGemm_k0mk1_k0nk1_mn_xdl_cshuffle_v1INS_13tensor_layout4gemm8RowMajorES4_S4_DF16_DF16_fDF16_DF16_NS_16tensor_operation12element_wise11PassThroughES7_S7_LNS5_6device18GemmSpecializationE0ELNS_25InMemoryDataOperationEnumE0ELi1ELi256ELi256ELi128ELi32ELi8ELi2ELi16ELi16ELi8ELi2ENS_8SequenceIJLi4ELi64ELi1EEEENSB_IJLi1ELi0ELi2EEEESD_Li2ELi8ELi8ELb0ELi1ENSB_IJLi8ELi32ELi1EEEENSB_IJLi0ELi2ELi1EEEESF_Li1ELi4ELi2ELb0ELi0ELi1ELi2ENSB_IJLi1ELi16ELi1ELi16EEEELi4ELNS_13LoopSchedulerE1ELNS_15PipelineVersionE0EDF16_DF16_EELb1EEEvNT_8ArgumentE.has_dyn_sized_stack, 0
	.set _ZN2ck27kernel_gemm_xdl_cshuffle_v1INS_43GridwiseGemm_k0mk1_k0nk1_mn_xdl_cshuffle_v1INS_13tensor_layout4gemm8RowMajorES4_S4_DF16_DF16_fDF16_DF16_NS_16tensor_operation12element_wise11PassThroughES7_S7_LNS5_6device18GemmSpecializationE0ELNS_25InMemoryDataOperationEnumE0ELi1ELi256ELi256ELi128ELi32ELi8ELi2ELi16ELi16ELi8ELi2ENS_8SequenceIJLi4ELi64ELi1EEEENSB_IJLi1ELi0ELi2EEEESD_Li2ELi8ELi8ELb0ELi1ENSB_IJLi8ELi32ELi1EEEENSB_IJLi0ELi2ELi1EEEESF_Li1ELi4ELi2ELb0ELi0ELi1ELi2ENSB_IJLi1ELi16ELi1ELi16EEEELi4ELNS_13LoopSchedulerE1ELNS_15PipelineVersionE0EDF16_DF16_EELb1EEEvNT_8ArgumentE.has_recursion, 0
	.set _ZN2ck27kernel_gemm_xdl_cshuffle_v1INS_43GridwiseGemm_k0mk1_k0nk1_mn_xdl_cshuffle_v1INS_13tensor_layout4gemm8RowMajorES4_S4_DF16_DF16_fDF16_DF16_NS_16tensor_operation12element_wise11PassThroughES7_S7_LNS5_6device18GemmSpecializationE0ELNS_25InMemoryDataOperationEnumE0ELi1ELi256ELi256ELi128ELi32ELi8ELi2ELi16ELi16ELi8ELi2ENS_8SequenceIJLi4ELi64ELi1EEEENSB_IJLi1ELi0ELi2EEEESD_Li2ELi8ELi8ELb0ELi1ENSB_IJLi8ELi32ELi1EEEENSB_IJLi0ELi2ELi1EEEESF_Li1ELi4ELi2ELb0ELi0ELi1ELi2ENSB_IJLi1ELi16ELi1ELi16EEEELi4ELNS_13LoopSchedulerE1ELNS_15PipelineVersionE0EDF16_DF16_EELb1EEEvNT_8ArgumentE.has_indirect_call, 0
	.section	.AMDGPU.csdata,"",@progbits
; Kernel info:
; codeLenInByte = 6180
; TotalNumSgprs: 28
; NumVgprs: 249
; ScratchSize: 0
; MemoryBound: 0
; FloatMode: 240
; IeeeMode: 1
; LDSByteSize: 24624 bytes/workgroup (compile time only)
; SGPRBlocks: 0
; VGPRBlocks: 31
; NumSGPRsForWavesPerEU: 28
; NumVGPRsForWavesPerEU: 249
; Occupancy: 5
; WaveLimiterHint : 0
; COMPUTE_PGM_RSRC2:SCRATCH_EN: 0
; COMPUTE_PGM_RSRC2:USER_SGPR: 2
; COMPUTE_PGM_RSRC2:TRAP_HANDLER: 0
; COMPUTE_PGM_RSRC2:TGID_X_EN: 1
; COMPUTE_PGM_RSRC2:TGID_Y_EN: 0
; COMPUTE_PGM_RSRC2:TGID_Z_EN: 0
; COMPUTE_PGM_RSRC2:TIDIG_COMP_CNT: 0
	.section	.text._ZN2ck27kernel_gemm_xdl_cshuffle_v1INS_43GridwiseGemm_k0mk1_k0nk1_mn_xdl_cshuffle_v1INS_13tensor_layout4gemm8RowMajorES4_S4_DF16_DF16_fDF16_DF16_NS_16tensor_operation12element_wise11PassThroughES7_S7_LNS5_6device18GemmSpecializationE0ELNS_25InMemoryDataOperationEnumE0ELi1ELi256ELi256ELi128ELi32ELi8ELi2ELi16ELi16ELi8ELi2ENS_8SequenceIJLi4ELi64ELi1EEEENSB_IJLi1ELi0ELi2EEEESD_Li2ELi8ELi8ELb0ELi1ENSB_IJLi8ELi32ELi1EEEENSB_IJLi0ELi2ELi1EEEESF_Li1ELi4ELi2ELb0ELi0ELi1ELi2ENSB_IJLi1ELi16ELi1ELi16EEEELi4ELNS_13LoopSchedulerE1ELNS_15PipelineVersionE0EDF16_DF16_EELb0EEEvNT_8ArgumentE,"axG",@progbits,_ZN2ck27kernel_gemm_xdl_cshuffle_v1INS_43GridwiseGemm_k0mk1_k0nk1_mn_xdl_cshuffle_v1INS_13tensor_layout4gemm8RowMajorES4_S4_DF16_DF16_fDF16_DF16_NS_16tensor_operation12element_wise11PassThroughES7_S7_LNS5_6device18GemmSpecializationE0ELNS_25InMemoryDataOperationEnumE0ELi1ELi256ELi256ELi128ELi32ELi8ELi2ELi16ELi16ELi8ELi2ENS_8SequenceIJLi4ELi64ELi1EEEENSB_IJLi1ELi0ELi2EEEESD_Li2ELi8ELi8ELb0ELi1ENSB_IJLi8ELi32ELi1EEEENSB_IJLi0ELi2ELi1EEEESF_Li1ELi4ELi2ELb0ELi0ELi1ELi2ENSB_IJLi1ELi16ELi1ELi16EEEELi4ELNS_13LoopSchedulerE1ELNS_15PipelineVersionE0EDF16_DF16_EELb0EEEvNT_8ArgumentE,comdat
	.protected	_ZN2ck27kernel_gemm_xdl_cshuffle_v1INS_43GridwiseGemm_k0mk1_k0nk1_mn_xdl_cshuffle_v1INS_13tensor_layout4gemm8RowMajorES4_S4_DF16_DF16_fDF16_DF16_NS_16tensor_operation12element_wise11PassThroughES7_S7_LNS5_6device18GemmSpecializationE0ELNS_25InMemoryDataOperationEnumE0ELi1ELi256ELi256ELi128ELi32ELi8ELi2ELi16ELi16ELi8ELi2ENS_8SequenceIJLi4ELi64ELi1EEEENSB_IJLi1ELi0ELi2EEEESD_Li2ELi8ELi8ELb0ELi1ENSB_IJLi8ELi32ELi1EEEENSB_IJLi0ELi2ELi1EEEESF_Li1ELi4ELi2ELb0ELi0ELi1ELi2ENSB_IJLi1ELi16ELi1ELi16EEEELi4ELNS_13LoopSchedulerE1ELNS_15PipelineVersionE0EDF16_DF16_EELb0EEEvNT_8ArgumentE ; -- Begin function _ZN2ck27kernel_gemm_xdl_cshuffle_v1INS_43GridwiseGemm_k0mk1_k0nk1_mn_xdl_cshuffle_v1INS_13tensor_layout4gemm8RowMajorES4_S4_DF16_DF16_fDF16_DF16_NS_16tensor_operation12element_wise11PassThroughES7_S7_LNS5_6device18GemmSpecializationE0ELNS_25InMemoryDataOperationEnumE0ELi1ELi256ELi256ELi128ELi32ELi8ELi2ELi16ELi16ELi8ELi2ENS_8SequenceIJLi4ELi64ELi1EEEENSB_IJLi1ELi0ELi2EEEESD_Li2ELi8ELi8ELb0ELi1ENSB_IJLi8ELi32ELi1EEEENSB_IJLi0ELi2ELi1EEEESF_Li1ELi4ELi2ELb0ELi0ELi1ELi2ENSB_IJLi1ELi16ELi1ELi16EEEELi4ELNS_13LoopSchedulerE1ELNS_15PipelineVersionE0EDF16_DF16_EELb0EEEvNT_8ArgumentE
	.globl	_ZN2ck27kernel_gemm_xdl_cshuffle_v1INS_43GridwiseGemm_k0mk1_k0nk1_mn_xdl_cshuffle_v1INS_13tensor_layout4gemm8RowMajorES4_S4_DF16_DF16_fDF16_DF16_NS_16tensor_operation12element_wise11PassThroughES7_S7_LNS5_6device18GemmSpecializationE0ELNS_25InMemoryDataOperationEnumE0ELi1ELi256ELi256ELi128ELi32ELi8ELi2ELi16ELi16ELi8ELi2ENS_8SequenceIJLi4ELi64ELi1EEEENSB_IJLi1ELi0ELi2EEEESD_Li2ELi8ELi8ELb0ELi1ENSB_IJLi8ELi32ELi1EEEENSB_IJLi0ELi2ELi1EEEESF_Li1ELi4ELi2ELb0ELi0ELi1ELi2ENSB_IJLi1ELi16ELi1ELi16EEEELi4ELNS_13LoopSchedulerE1ELNS_15PipelineVersionE0EDF16_DF16_EELb0EEEvNT_8ArgumentE
	.p2align	8
	.type	_ZN2ck27kernel_gemm_xdl_cshuffle_v1INS_43GridwiseGemm_k0mk1_k0nk1_mn_xdl_cshuffle_v1INS_13tensor_layout4gemm8RowMajorES4_S4_DF16_DF16_fDF16_DF16_NS_16tensor_operation12element_wise11PassThroughES7_S7_LNS5_6device18GemmSpecializationE0ELNS_25InMemoryDataOperationEnumE0ELi1ELi256ELi256ELi128ELi32ELi8ELi2ELi16ELi16ELi8ELi2ENS_8SequenceIJLi4ELi64ELi1EEEENSB_IJLi1ELi0ELi2EEEESD_Li2ELi8ELi8ELb0ELi1ENSB_IJLi8ELi32ELi1EEEENSB_IJLi0ELi2ELi1EEEESF_Li1ELi4ELi2ELb0ELi0ELi1ELi2ENSB_IJLi1ELi16ELi1ELi16EEEELi4ELNS_13LoopSchedulerE1ELNS_15PipelineVersionE0EDF16_DF16_EELb0EEEvNT_8ArgumentE,@function
_ZN2ck27kernel_gemm_xdl_cshuffle_v1INS_43GridwiseGemm_k0mk1_k0nk1_mn_xdl_cshuffle_v1INS_13tensor_layout4gemm8RowMajorES4_S4_DF16_DF16_fDF16_DF16_NS_16tensor_operation12element_wise11PassThroughES7_S7_LNS5_6device18GemmSpecializationE0ELNS_25InMemoryDataOperationEnumE0ELi1ELi256ELi256ELi128ELi32ELi8ELi2ELi16ELi16ELi8ELi2ENS_8SequenceIJLi4ELi64ELi1EEEENSB_IJLi1ELi0ELi2EEEESD_Li2ELi8ELi8ELb0ELi1ENSB_IJLi8ELi32ELi1EEEENSB_IJLi0ELi2ELi1EEEESF_Li1ELi4ELi2ELb0ELi0ELi1ELi2ENSB_IJLi1ELi16ELi1ELi16EEEELi4ELNS_13LoopSchedulerE1ELNS_15PipelineVersionE0EDF16_DF16_EELb0EEEvNT_8ArgumentE: ; @_ZN2ck27kernel_gemm_xdl_cshuffle_v1INS_43GridwiseGemm_k0mk1_k0nk1_mn_xdl_cshuffle_v1INS_13tensor_layout4gemm8RowMajorES4_S4_DF16_DF16_fDF16_DF16_NS_16tensor_operation12element_wise11PassThroughES7_S7_LNS5_6device18GemmSpecializationE0ELNS_25InMemoryDataOperationEnumE0ELi1ELi256ELi256ELi128ELi32ELi8ELi2ELi16ELi16ELi8ELi2ENS_8SequenceIJLi4ELi64ELi1EEEENSB_IJLi1ELi0ELi2EEEESD_Li2ELi8ELi8ELb0ELi1ENSB_IJLi8ELi32ELi1EEEENSB_IJLi0ELi2ELi1EEEESF_Li1ELi4ELi2ELb0ELi0ELi1ELi2ENSB_IJLi1ELi16ELi1ELi16EEEELi4ELNS_13LoopSchedulerE1ELNS_15PipelineVersionE0EDF16_DF16_EELb0EEEvNT_8ArgumentE
; %bb.0:
	s_clause 0x1
	s_load_b128 s[4:7], s[0:1], 0x10
	s_load_b64 s[16:17], s[0:1], 0x20
	s_abs_i32 s11, ttmp9
	v_and_b32_e32 v17, 0xfc, v0
	v_and_b32_e32 v27, 3, v0
	v_lshlrev_b32_e32 v2, 2, v0
	s_mov_b32 s19, 0
	v_and_b32_e32 v173, 15, v0
	s_mov_b32 s20, s19
	v_and_b32_e32 v174, 0x60, v0
	v_and_b32_e32 v28, 0x7c, v2
	;; [unrolled: 1-line block ×3, first 2 shown]
	v_lshlrev_b32_e32 v30, 4, v173
	v_and_b32_e32 v31, 0x80, v0
	v_lshlrev_b32_e32 v32, 1, v174
	s_delay_alu instid0(VALU_DEP_4) | instskip(NEXT) | instid1(VALU_DEP_4)
	v_lshlrev_b32_e32 v33, 8, v29
	v_mad_i32_i24 v34, v173, -12, v30
	v_lshrrev_b32_e32 v29, 3, v29
	v_lshl_or_b32 v30, v31, 1, v30
	s_wait_kmcnt 0x0
	s_add_co_i32 s2, s4, 0xff
	s_add_co_i32 s3, s5, 0x7f
	s_ashr_i32 s8, s2, 31
	s_ashr_i32 s9, s3, 31
	s_lshr_b32 s8, s8, 24
	s_lshr_b32 s9, s9, 25
	s_add_co_i32 s2, s2, s8
	s_add_co_i32 s3, s3, s9
	s_ashr_i32 s2, s2, 8
	s_ashr_i32 s8, s3, 7
	s_add_co_i32 s21, s6, 0x7fffffff
	s_mul_i32 s3, s8, s2
	v_add3_u32 v31, v34, v32, v33
	s_abs_i32 s9, s3
	v_mad_u32_u24 v37, 0x1010, v29, v30
	s_cvt_f32_u32 s3, s9
	s_sub_co_i32 s10, 0, s9
	v_add_nc_u32_e32 v45, 48, v31
	s_delay_alu instid0(SALU_CYCLE_1) | instskip(NEXT) | instid1(TRANS32_DEP_1)
	v_rcp_iflag_f32_e32 v1, s3
	v_readfirstlane_b32 s3, v1
	s_mul_f32 s3, s3, 0x4f7ffffe
	s_wait_alu 0xfffe
	s_delay_alu instid0(SALU_CYCLE_2) | instskip(SKIP_1) | instid1(SALU_CYCLE_2)
	s_cvt_u32_f32 s3, s3
	s_wait_alu 0xfffe
	s_mul_i32 s10, s10, s3
	s_delay_alu instid0(SALU_CYCLE_1) | instskip(NEXT) | instid1(SALU_CYCLE_1)
	s_mul_hi_u32 s10, s3, s10
	s_add_co_i32 s3, s3, s10
	s_ashr_i32 s10, ttmp9, 31
	s_wait_alu 0xfffe
	s_mul_hi_u32 s3, s11, s3
	s_wait_alu 0xfffe
	s_mul_i32 s12, s3, s9
	s_add_co_i32 s3, s4, -1
	s_sub_co_i32 s4, s11, s12
	s_delay_alu instid0(SALU_CYCLE_1) | instskip(SKIP_2) | instid1(SALU_CYCLE_1)
	s_sub_co_i32 s11, s4, s9
	s_cmp_ge_u32 s4, s9
	s_cselect_b32 s4, s11, s4
	s_sub_co_i32 s11, s4, s9
	s_cmp_ge_u32 s4, s9
	s_cselect_b32 s4, s11, s4
	s_abs_i32 s9, s8
	s_xor_b32 s4, s4, s10
	s_cvt_f32_u32 s11, s9
	s_sub_co_i32 s12, 0, s9
	s_sub_co_i32 s4, s4, s10
	s_delay_alu instid0(SALU_CYCLE_1) | instskip(NEXT) | instid1(TRANS32_DEP_1)
	v_rcp_iflag_f32_e32 v1, s11
	v_readfirstlane_b32 s11, v1
	s_mul_f32 s11, s11, 0x4f7ffffe
	s_wait_alu 0xfffe
	s_delay_alu instid0(SALU_CYCLE_2) | instskip(SKIP_1) | instid1(SALU_CYCLE_2)
	s_cvt_u32_f32 s11, s11
	s_wait_alu 0xfffe
	s_mul_i32 s12, s12, s11
	s_delay_alu instid0(SALU_CYCLE_1)
	s_mul_hi_u32 s10, s11, s12
	s_abs_i32 s12, s4
	s_wait_alu 0xfffe
	s_add_co_i32 s11, s11, s10
	s_wait_alu 0xfffe
	s_mul_hi_u32 s10, s12, s11
	s_xor_b32 s11, s4, s8
	s_wait_alu 0xfffe
	s_mul_i32 s13, s10, s9
	s_ashr_i32 s11, s11, 31
	s_sub_co_i32 s12, s12, s13
	s_add_co_i32 s13, s10, 1
	s_sub_co_i32 s14, s12, s9
	s_cmp_ge_u32 s12, s9
	s_cselect_b32 s10, s13, s10
	s_cselect_b32 s12, s14, s12
	s_wait_alu 0xfffe
	s_add_co_i32 s13, s10, 1
	s_cmp_ge_u32 s12, s9
	s_cselect_b32 s9, s13, s10
	s_lshr_b32 s10, s2, 29
	s_xor_b32 s9, s9, s11
	s_wait_alu 0xfffe
	s_add_co_i32 s10, s2, s10
	s_sub_co_i32 s9, s9, s11
	s_wait_alu 0xfffe
	s_and_b32 s10, s10, -8
	s_mul_i32 s13, s9, s8
	s_wait_alu 0xfffe
	s_sub_co_i32 s2, s2, s10
	s_cmp_ge_i32 s9, s10
	s_wait_alu 0xfffe
	s_cselect_b32 s2, s2, 8
	s_ashr_i32 s12, s9, 31
	s_wait_alu 0xfffe
	s_abs_i32 s10, s2
	s_lshr_b32 s12, s12, 29
	s_wait_alu 0xfffe
	s_cvt_f32_u32 s11, s10
	s_add_co_i32 s12, s9, s12
	s_sub_co_i32 s4, s4, s13
	s_and_b32 s22, s12, -8
	s_wait_alu 0xfffe
	v_rcp_iflag_f32_e32 v1, s11
	s_sub_co_i32 s9, s9, s22
	s_sub_co_i32 s12, 0, s10
	s_mul_i32 s8, s9, s8
	s_delay_alu instid0(SALU_CYCLE_1) | instskip(NEXT) | instid1(SALU_CYCLE_1)
	s_add_co_i32 s8, s8, s4
	s_abs_i32 s9, s8
	s_delay_alu instid0(TRANS32_DEP_1) | instskip(SKIP_2) | instid1(VALU_DEP_1)
	v_readfirstlane_b32 s11, v1
	v_lshrrev_b32_e32 v1, 4, v0
	s_mul_f32 s11, s11, 0x4f7ffffe
	v_and_b32_e32 v18, 14, v1
	s_wait_alu 0xfffe
	s_delay_alu instid0(SALU_CYCLE_1) | instskip(NEXT) | instid1(VALU_DEP_1)
	s_cvt_u32_f32 s11, s11
	v_mul_lo_u32 v3, v18, s16
	s_wait_alu 0xfffe
	s_delay_alu instid0(SALU_CYCLE_1) | instskip(NEXT) | instid1(SALU_CYCLE_1)
	s_mul_i32 s12, s12, s11
	s_mul_hi_u32 s4, s11, s12
	s_delay_alu instid0(SALU_CYCLE_1)
	s_add_co_i32 s11, s11, s4
	s_wait_alu 0xfffe
	s_mul_hi_u32 s4, s9, s11
	s_xor_b32 s11, s8, s2
	s_mul_i32 s12, s4, s10
	s_wait_alu 0xfffe
	s_ashr_i32 s18, s11, 31
	s_sub_co_i32 s9, s9, s12
	s_add_co_i32 s11, s4, 1
	s_sub_co_i32 s12, s9, s10
	s_cmp_ge_u32 s9, s10
	v_lshlrev_b32_e32 v2, 1, v3
	s_wait_alu 0xfffe
	s_cselect_b32 s4, s11, s4
	s_cselect_b32 s9, s12, s9
	s_add_co_i32 s11, s4, 1
	s_cmp_ge_u32 s9, s10
	s_clause 0x1
	s_load_b128 s[12:15], s[0:1], 0x48
	s_load_b64 s[0:1], s[0:1], 0x58
	s_cselect_b32 s4, s11, s4
	s_mov_b32 s11, 0x31004000
	s_xor_b32 s4, s4, s18
	s_delay_alu instid0(SALU_CYCLE_1)
	s_sub_co_i32 s4, s4, s18
	s_mov_b32 s18, s7
	s_mul_i32 s2, s4, s2
	s_lshl_b32 s10, s4, 7
	s_wait_alu 0xfffe
	s_sub_co_i32 s8, s8, s2
	v_add3_u32 v2, v2, v28, s10
	s_add_co_i32 s22, s22, s8
	s_mov_b32 s2, s19
	v_lshl_or_b32 v1, s22, 8, v17
	s_wait_alu 0xfffe
	s_mul_u64 s[8:9], s[2:3], s[18:19]
	v_add_nc_u32_e32 v20, s16, v2
	s_mov_b32 s18, s16
	s_add_co_i32 s6, s6, s9
	v_mul_lo_u32 v1, v1, s7
	s_mul_u64 s[20:21], s[20:21], s[18:19]
	s_wait_kmcnt 0x0
	s_and_b32 s9, s13, 0xffff
	s_lshl_b32 s13, s16, 1
	v_lshlrev_b32_e32 v19, 1, v2
	s_mov_b32 s8, s12
	s_add_co_i32 s12, s5, s21
	s_lshl_b32 s10, s6, 1
	v_lshl_add_u32 v1, v27, 3, v1
	v_lshlrev_b32_e32 v21, 1, v20
	v_add_lshl_u32 v23, v20, s13, 1
	v_add_lshl_u32 v25, s13, v2, 1
	v_lshlrev_b32_e32 v17, 4, v17
	v_add_nc_u32_e32 v3, s7, v1
	v_lshlrev_b32_e32 v1, 1, v1
	v_lshlrev_b32_e32 v28, 2, v28
	s_mov_b32 s18, s17
	v_mad_u32_u24 v27, 0x1010, v27, v17
	v_add_nc_u32_e32 v4, s7, v3
	v_lshlrev_b32_e32 v5, 1, v3
	v_lshl_or_b32 v28, v18, 9, v28
	s_mul_u64 s[2:3], s[2:3], s[18:19]
	s_delay_alu instid0(VALU_DEP_3)
	v_lshlrev_b32_e32 v9, 1, v4
	v_add_lshl_u32 v13, v4, s7, 1
	s_clause 0x3
	buffer_load_b128 v[1:4], v1, s[8:11], null offen
	buffer_load_b128 v[5:8], v5, s[8:11], null offen
	;; [unrolled: 1-line block ×4, first 2 shown]
	s_lshl_b32 s10, s12, 1
	s_and_b32 s9, s15, 0xffff
	s_mov_b32 s8, s14
	s_clause 0x3
	buffer_load_b64 v[19:20], v19, s[8:11], null offen
	buffer_load_b64 v[21:22], v21, s[8:11], null offen
	;; [unrolled: 1-line block ×4, first 2 shown]
	s_wait_loadcnt 0x2
	v_perm_b32 v17, v21, v19, 0x5040100
	v_perm_b32 v18, v21, v19, 0x7060302
	;; [unrolled: 1-line block ×4, first 2 shown]
	s_wait_loadcnt 0x0
	v_perm_b32 v21, v23, v25, 0x5040100
	v_perm_b32 v22, v23, v25, 0x7060302
	;; [unrolled: 1-line block ×4, first 2 shown]
	ds_store_b128 v27, v[1:4]
	ds_store_b128 v27, v[5:8] offset:16
	ds_store_b128 v27, v[9:12] offset:32
	;; [unrolled: 1-line block ×5, first 2 shown]
	s_wait_dscnt 0x0
	s_barrier_signal -1
	s_barrier_wait -1
	ds_load_b128 v[1:4], v37
	ds_load_b128 v[5:8], v37 offset:512
	ds_load_b128 v[9:12], v37 offset:4112
	;; [unrolled: 1-line block ×15, first 2 shown]
	ds_load_2addr_stride64_b32 v[37:38], v45 offset0:64 offset1:65
	ds_load_2addr_stride64_b32 v[157:158], v45 offset0:66 offset1:67
	;; [unrolled: 1-line block ×8, first 2 shown]
	; sched_barrier mask(0x00000000)
	;;#ASMSTART
		        s_barrier_signal -1 
 		s_barrier_wait -1 		
	;;#ASMEND
	; sched_barrier mask(0x00000000)
	s_wait_dscnt 0x6
	v_dual_mov_b32 v165, v37 :: v_dual_mov_b32 v166, v157
	s_wait_dscnt 0x4
	v_dual_mov_b32 v167, v39 :: v_dual_mov_b32 v168, v159
	s_delay_alu instid0(VALU_DEP_1)
	v_wmma_f32_16x16x16_f16 v[49:56], v[1:4], v[165:168], 0
	; sched_barrier mask(0x00000000)
	s_setprio 1
	; sched_barrier mask(0x00000000)
	s_wait_dscnt 0x2
	v_dual_mov_b32 v157, v38 :: v_dual_mov_b32 v170, v161
	s_wait_dscnt 0x0
	v_dual_mov_b32 v159, v40 :: v_dual_mov_b32 v172, v163
	v_wmma_f32_16x16x16_f16 v[57:64], v[5:8], v[165:168], 0
	v_wmma_f32_16x16x16_f16 v[81:88], v[17:20], v[165:168], 0
	s_delay_alu instid0(VALU_DEP_3)
	v_wmma_f32_16x16x16_f16 v[65:72], v[1:4], v[157:160], 0
	v_wmma_f32_16x16x16_f16 v[73:80], v[5:8], v[157:160], 0
	;; [unrolled: 1-line block ×5, first 2 shown]
	v_mov_b32_e32 v169, v41
	v_mov_b32_e32 v171, v43
	;; [unrolled: 1-line block ×4, first 2 shown]
	v_wmma_f32_16x16x16_f16 v[113:120], v[33:36], v[165:168], 0
	v_wmma_f32_16x16x16_f16 v[121:128], v[33:36], v[157:160], 0
	;; [unrolled: 1-line block ×3, first 2 shown]
	s_delay_alu instid0(VALU_DEP_4)
	v_wmma_f32_16x16x16_f16 v[65:72], v[9:12], v[161:164], v[65:72]
	v_wmma_f32_16x16x16_f16 v[57:64], v[13:16], v[169:172], v[57:64]
	v_wmma_f32_16x16x16_f16 v[73:80], v[13:16], v[161:164], v[73:80]
	v_wmma_f32_16x16x16_f16 v[41:48], v[129:132], v[165:168], 0
	v_wmma_f32_16x16x16_f16 v[81:88], v[25:28], v[169:172], v[81:88]
	v_wmma_f32_16x16x16_f16 v[89:96], v[25:28], v[161:164], v[89:96]
	v_wmma_f32_16x16x16_f16 v[33:40], v[129:132], v[157:160], 0
	v_wmma_f32_16x16x16_f16 v[97:104], v[29:32], v[169:172], v[97:104]
	v_wmma_f32_16x16x16_f16 v[105:112], v[29:32], v[161:164], v[105:112]
	v_wmma_f32_16x16x16_f16 v[25:32], v[141:144], v[165:168], 0
	v_wmma_f32_16x16x16_f16 v[17:24], v[141:144], v[157:160], 0
	v_wmma_f32_16x16x16_f16 v[9:16], v[145:148], v[165:168], 0
	v_wmma_f32_16x16x16_f16 v[113:120], v[133:136], v[169:172], v[113:120]
	v_wmma_f32_16x16x16_f16 v[121:128], v[133:136], v[161:164], v[121:128]
	v_wmma_f32_16x16x16_f16 v[41:48], v[137:140], v[169:172], v[41:48]
	v_wmma_f32_16x16x16_f16 v[33:40], v[137:140], v[161:164], v[33:40]
	v_wmma_f32_16x16x16_f16 v[25:32], v[149:152], v[169:172], v[25:32]
	v_wmma_f32_16x16x16_f16 v[17:24], v[149:152], v[161:164], v[17:24]
	v_wmma_f32_16x16x16_f16 v[1:8], v[145:148], v[157:160], 0
	v_wmma_f32_16x16x16_f16 v[9:16], v[153:156], v[169:172], v[9:16]
	; sched_barrier mask(0x00000000)
	s_wait_dscnt 0x0
	s_barrier_signal -1
	s_barrier_wait -1
	; sched_barrier mask(0x00000000)
	v_wmma_f32_16x16x16_f16 v[1:8], v[153:156], v[161:164], v[1:8]
	; sched_barrier mask(0x00000000)
	s_setprio 0
	; sched_barrier mask(0x00000000)
	v_lshrrev_b32_e32 v129, 1, v0
	v_lshrrev_b32_e32 v130, 3, v0
	v_lshlrev_b32_e32 v0, 3, v0
	v_cvt_f16_f32_e64 v131, v49
	v_cvt_f16_f32_e32 v55, v55
	v_and_b32_e32 v49, 8, v129
	v_and_b32_e32 v129, 30, v130
	v_and_b32_e32 v132, 0x78, v0
	v_cvt_f16_f32_e32 v56, v56
	v_cvt_f16_f32_e32 v72, v72
	v_and_or_b32 v0, v130, 16, v49
	v_lshlrev_b32_e32 v130, 1, v173
	v_cvt_f16_f32_e32 v49, v53
	v_cvt_f16_f32_e32 v53, v54
	s_wait_dscnt 0x0
	v_lshlrev_b32_e32 v0, 8, v0
	s_barrier_signal -1
	s_barrier_wait -1
	v_cvt_f16_f32_e32 v71, v71
	v_cvt_f16_f32_e32 v70, v70
	v_or3_b32 v0, v174, v0, v130
	v_cvt_f16_f32_e32 v69, v69
	v_cvt_f16_f32_e32 v50, v50
	;; [unrolled: 1-line block ×4, first 2 shown]
	ds_store_b16 v0, v49 offset:1024
	ds_store_b16 v0, v53 offset:1280
	;; [unrolled: 1-line block ×8, first 2 shown]
	v_lshlrev_b32_e32 v49, 1, v132
	v_lshl_or_b32 v54, s4, 7, v132
	v_lshl_or_b32 v133, s22, 8, v129
	v_cvt_f16_f32_e32 v55, v67
	v_cvt_f16_f32_e32 v53, v68
	v_lshl_or_b32 v49, v129, 8, v49
	v_cvt_f16_f32_e32 v65, v65
	v_cvt_f16_f32_e32 v56, v66
	ds_store_b16 v0, v131
	ds_store_b16 v0, v50 offset:256
	ds_store_b16 v0, v51 offset:512
	;; [unrolled: 1-line block ×7, first 2 shown]
	s_wait_dscnt 0x0
	s_barrier_signal -1
	s_barrier_wait -1
	ds_load_b128 v[50:53], v49
	ds_load_b128 v[65:68], v49 offset:256
	v_mad_co_u64_u32 v[54:55], null, v133, s17, v[54:55]
	s_add_co_i32 s2, s5, s3
	s_and_b32 s1, s1, 0xffff
	s_wait_alu 0xfffe
	s_lshl_b32 s2, s2, 1
	s_mov_b32 s3, s11
	s_mul_i32 s4, s17, 31
	v_cvt_f16_f32_e32 v41, v41
	v_add_nc_u32_e32 v55, 4, v54
	v_add_nc_u32_e32 v69, s17, v54
	v_lshlrev_b32_e32 v54, 1, v54
	v_cvt_f16_f32_e32 v45, v45
	v_cvt_f16_f32_e32 v42, v42
	v_lshlrev_b32_e32 v56, 1, v55
	v_add_lshl_u32 v55, v55, s17, 1
	v_lshlrev_b32_e32 v70, 1, v69
	s_wait_dscnt 0x1
	s_clause 0x1
	buffer_store_b64 v[50:51], v54, s[0:3], null offen
	buffer_store_b64 v[52:53], v56, s[0:3], null offen
	s_wait_dscnt 0x0
	s_clause 0x1
	buffer_store_b64 v[67:68], v55, s[0:3], null offen
	buffer_store_b64 v[65:66], v70, s[0:3], null offen
	v_cvt_f16_f32_e32 v54, v61
	v_cvt_f16_f32_e32 v50, v57
	v_cvt_f16_f32_e32 v55, v62
	v_cvt_f16_f32_e32 v51, v58
	v_cvt_f16_f32_e32 v56, v63
	v_cvt_f16_f32_e32 v52, v59
	v_cvt_f16_f32_e32 v57, v64
	v_cvt_f16_f32_e32 v53, v60
	v_cvt_f16_f32_e32 v58, v80
	s_wait_dscnt 0x0
	s_barrier_signal -1
	s_barrier_wait -1
	v_cvt_f16_f32_e32 v59, v79
	v_cvt_f16_f32_e32 v60, v78
	v_cvt_f16_f32_e32 v61, v77
	ds_store_b16 v0, v54 offset:1024
	ds_store_b16 v0, v55 offset:1280
	ds_store_b16 v0, v56 offset:1536
	ds_store_b16 v0, v57 offset:1792
	ds_store_b16 v0, v58 offset:1920
	ds_store_b16 v0, v59 offset:1664
	ds_store_b16 v0, v60 offset:1408
	ds_store_b16 v0, v61 offset:1152
	v_cvt_f16_f32_e32 v54, v76
	v_cvt_f16_f32_e32 v55, v75
	v_cvt_f16_f32_e32 v56, v74
	v_cvt_f16_f32_e32 v57, v73
	ds_store_b16 v0, v50
	ds_store_b16 v0, v51 offset:256
	ds_store_b16 v0, v52 offset:512
	ds_store_b16 v0, v53 offset:768
	ds_store_b16 v0, v54 offset:896
	ds_store_b16 v0, v55 offset:640
	ds_store_b16 v0, v56 offset:384
	ds_store_b16 v0, v57 offset:128
	s_wait_dscnt 0x0
	s_barrier_signal -1
	s_barrier_wait -1
	ds_load_b128 v[50:53], v49
	ds_load_b128 v[54:57], v49 offset:256
	v_add_nc_u32_e32 v58, s4, v69
	v_cvt_f16_f32_e32 v46, v46
	v_cvt_f16_f32_e32 v43, v43
	v_cvt_f16_f32_e32 v47, v47
	v_cvt_f16_f32_e32 v44, v44
	v_add_nc_u32_e32 v59, 4, v58
	v_add_nc_u32_e32 v60, s17, v58
	v_lshlrev_b32_e32 v58, 1, v58
	v_cvt_f16_f32_e32 v48, v48
	v_cvt_f16_f32_e32 v40, v40
	v_lshlrev_b32_e32 v61, 1, v59
	v_add_lshl_u32 v59, v59, s17, 1
	v_lshlrev_b32_e32 v62, 1, v60
	s_wait_dscnt 0x1
	s_clause 0x1
	buffer_store_b64 v[50:51], v58, s[0:3], null offen
	buffer_store_b64 v[52:53], v61, s[0:3], null offen
	s_wait_dscnt 0x0
	s_clause 0x1
	buffer_store_b64 v[56:57], v59, s[0:3], null offen
	buffer_store_b64 v[54:55], v62, s[0:3], null offen
	v_cvt_f16_f32_e32 v54, v85
	v_cvt_f16_f32_e32 v50, v81
	v_cvt_f16_f32_e32 v55, v86
	v_cvt_f16_f32_e32 v51, v82
	v_cvt_f16_f32_e32 v56, v87
	v_cvt_f16_f32_e32 v52, v83
	v_cvt_f16_f32_e32 v57, v88
	v_cvt_f16_f32_e32 v53, v84
	v_cvt_f16_f32_e32 v58, v96
	s_wait_dscnt 0x0
	s_barrier_signal -1
	s_barrier_wait -1
	v_cvt_f16_f32_e32 v59, v95
	v_cvt_f16_f32_e32 v61, v94
	v_cvt_f16_f32_e32 v62, v93
	ds_store_b16 v0, v54 offset:1024
	ds_store_b16 v0, v55 offset:1280
	ds_store_b16 v0, v56 offset:1536
	ds_store_b16 v0, v57 offset:1792
	ds_store_b16 v0, v58 offset:1920
	ds_store_b16 v0, v59 offset:1664
	ds_store_b16 v0, v61 offset:1408
	ds_store_b16 v0, v62 offset:1152
	v_cvt_f16_f32_e32 v54, v92
	v_cvt_f16_f32_e32 v55, v91
	v_cvt_f16_f32_e32 v56, v90
	v_cvt_f16_f32_e32 v57, v89
	ds_store_b16 v0, v50
	ds_store_b16 v0, v51 offset:256
	ds_store_b16 v0, v52 offset:512
	ds_store_b16 v0, v53 offset:768
	ds_store_b16 v0, v54 offset:896
	ds_store_b16 v0, v55 offset:640
	ds_store_b16 v0, v56 offset:384
	ds_store_b16 v0, v57 offset:128
	s_wait_dscnt 0x0
	s_barrier_signal -1
	s_barrier_wait -1
	ds_load_b128 v[50:53], v49
	ds_load_b128 v[54:57], v49 offset:256
	v_add_nc_u32_e32 v58, s4, v60
	v_cvt_f16_f32_e32 v39, v39
	v_cvt_f16_f32_e32 v38, v38
	v_cvt_f16_f32_e32 v37, v37
	;; [unrolled: 61-line block ×3, first 2 shown]
	v_cvt_f16_f32_e32 v26, v26
	v_add_nc_u32_e32 v59, 4, v58
	v_add_nc_u32_e32 v60, s17, v58
	v_lshlrev_b32_e32 v58, 1, v58
	v_cvt_f16_f32_e32 v30, v30
	v_cvt_f16_f32_e32 v27, v27
	v_lshlrev_b32_e32 v61, 1, v59
	v_add_lshl_u32 v59, v59, s17, 1
	v_lshlrev_b32_e32 v62, 1, v60
	s_wait_dscnt 0x1
	s_clause 0x1
	buffer_store_b64 v[50:51], v58, s[0:3], null offen
	buffer_store_b64 v[52:53], v61, s[0:3], null offen
	s_wait_dscnt 0x0
	s_clause 0x1
	buffer_store_b64 v[56:57], v59, s[0:3], null offen
	buffer_store_b64 v[54:55], v62, s[0:3], null offen
	v_cvt_f16_f32_e32 v54, v117
	v_cvt_f16_f32_e32 v50, v113
	;; [unrolled: 1-line block ×8, first 2 shown]
	v_cvt_f16_f32_e64 v58, v128
	s_wait_dscnt 0x0
	s_barrier_signal -1
	s_barrier_wait -1
	v_cvt_f16_f32_e32 v59, v127
	v_cvt_f16_f32_e32 v61, v126
	;; [unrolled: 1-line block ×3, first 2 shown]
	ds_store_b16 v0, v54 offset:1024
	ds_store_b16 v0, v55 offset:1280
	;; [unrolled: 1-line block ×8, first 2 shown]
	v_cvt_f16_f32_e32 v54, v124
	v_cvt_f16_f32_e32 v55, v123
	;; [unrolled: 1-line block ×4, first 2 shown]
	ds_store_b16 v0, v50
	ds_store_b16 v0, v51 offset:256
	ds_store_b16 v0, v52 offset:512
	;; [unrolled: 1-line block ×7, first 2 shown]
	s_wait_dscnt 0x0
	s_barrier_signal -1
	s_barrier_wait -1
	ds_load_b128 v[50:53], v49
	ds_load_b128 v[54:57], v49 offset:256
	v_add_nc_u32_e32 v58, s4, v60
	v_cvt_f16_f32_e32 v31, v31
	v_cvt_f16_f32_e32 v28, v28
	;; [unrolled: 1-line block ×4, first 2 shown]
	v_add_nc_u32_e32 v59, 4, v58
	v_add_nc_u32_e32 v60, s17, v58
	v_lshlrev_b32_e32 v58, 1, v58
	v_cvt_f16_f32_e32 v23, v23
	v_cvt_f16_f32_e32 v22, v22
	v_lshlrev_b32_e32 v61, 1, v59
	v_add_lshl_u32 v59, v59, s17, 1
	v_lshlrev_b32_e32 v62, 1, v60
	s_wait_dscnt 0x1
	s_clause 0x1
	buffer_store_b64 v[50:51], v58, s[0:3], null offen
	buffer_store_b64 v[52:53], v61, s[0:3], null offen
	s_wait_dscnt 0x0
	s_clause 0x1
	buffer_store_b64 v[56:57], v59, s[0:3], null offen
	buffer_store_b64 v[54:55], v62, s[0:3], null offen
	s_wait_dscnt 0x0
	s_barrier_signal -1
	s_barrier_wait -1
	ds_store_b16 v0, v45 offset:1024
	ds_store_b16 v0, v46 offset:1280
	;; [unrolled: 1-line block ×8, first 2 shown]
	ds_store_b16 v0, v41
	ds_store_b16 v0, v42 offset:256
	ds_store_b16 v0, v43 offset:512
	;; [unrolled: 1-line block ×7, first 2 shown]
	s_wait_dscnt 0x0
	s_barrier_signal -1
	s_barrier_wait -1
	ds_load_b128 v[33:36], v49
	ds_load_b128 v[37:40], v49 offset:256
	v_add_nc_u32_e32 v41, s4, v60
	v_cvt_f16_f32_e32 v21, v21
	v_cvt_f16_f32_e32 v20, v20
	;; [unrolled: 1-line block ×4, first 2 shown]
	v_add_nc_u32_e32 v42, 4, v41
	v_add_nc_u32_e32 v43, s17, v41
	v_lshlrev_b32_e32 v41, 1, v41
	v_cvt_f16_f32_e32 v17, v17
	v_cvt_f16_f32_e32 v9, v9
	v_lshlrev_b32_e32 v44, 1, v42
	v_add_lshl_u32 v42, v42, s17, 1
	v_lshlrev_b32_e32 v45, 1, v43
	s_wait_dscnt 0x1
	s_clause 0x1
	buffer_store_b64 v[33:34], v41, s[0:3], null offen
	buffer_store_b64 v[35:36], v44, s[0:3], null offen
	s_wait_dscnt 0x0
	s_clause 0x1
	buffer_store_b64 v[39:40], v42, s[0:3], null offen
	buffer_store_b64 v[37:38], v45, s[0:3], null offen
	s_wait_dscnt 0x0
	s_barrier_signal -1
	s_barrier_wait -1
	ds_store_b16 v0, v29 offset:1024
	ds_store_b16 v0, v30 offset:1280
	ds_store_b16 v0, v31 offset:1536
	ds_store_b16 v0, v32 offset:1792
	ds_store_b16 v0, v24 offset:1920
	ds_store_b16 v0, v23 offset:1664
	ds_store_b16 v0, v22 offset:1408
	ds_store_b16 v0, v21 offset:1152
	ds_store_b16 v0, v25
	ds_store_b16 v0, v26 offset:256
	ds_store_b16 v0, v27 offset:512
	;; [unrolled: 1-line block ×7, first 2 shown]
	s_wait_dscnt 0x0
	s_barrier_signal -1
	s_barrier_wait -1
	ds_load_b128 v[17:20], v49
	ds_load_b128 v[21:24], v49 offset:256
	v_add_nc_u32_e32 v25, s4, v43
	v_cvt_f16_f32_e32 v13, v13
	v_cvt_f16_f32_e32 v10, v10
	v_cvt_f16_f32_e32 v14, v14
	v_cvt_f16_f32_e32 v11, v11
	v_add_nc_u32_e32 v26, 4, v25
	v_add_nc_u32_e32 v27, s17, v25
	v_lshlrev_b32_e32 v25, 1, v25
	v_cvt_f16_f32_e32 v15, v15
	v_cvt_f16_f32_e32 v12, v12
	v_lshlrev_b32_e32 v28, 1, v26
	v_add_lshl_u32 v26, v26, s17, 1
	v_lshlrev_b32_e32 v29, 1, v27
	v_cvt_f16_f32_e32 v16, v16
	v_cvt_f16_f32_e32 v8, v8
	;; [unrolled: 1-line block ×9, first 2 shown]
	s_wait_dscnt 0x1
	s_clause 0x1
	buffer_store_b64 v[17:18], v25, s[0:3], null offen
	buffer_store_b64 v[19:20], v28, s[0:3], null offen
	s_wait_dscnt 0x0
	s_clause 0x1
	buffer_store_b64 v[23:24], v26, s[0:3], null offen
	buffer_store_b64 v[21:22], v29, s[0:3], null offen
	s_wait_dscnt 0x0
	s_barrier_signal -1
	s_barrier_wait -1
	ds_store_b16 v0, v13 offset:1024
	ds_store_b16 v0, v14 offset:1280
	;; [unrolled: 1-line block ×8, first 2 shown]
	ds_store_b16 v0, v9
	ds_store_b16 v0, v10 offset:256
	ds_store_b16 v0, v11 offset:512
	;; [unrolled: 1-line block ×7, first 2 shown]
	s_wait_dscnt 0x0
	s_barrier_signal -1
	s_barrier_wait -1
	ds_load_b128 v[0:3], v49
	ds_load_b128 v[4:7], v49 offset:256
	v_add_nc_u32_e32 v8, s4, v27
	s_delay_alu instid0(VALU_DEP_1) | instskip(SKIP_2) | instid1(VALU_DEP_3)
	v_add_nc_u32_e32 v9, 4, v8
	v_lshlrev_b32_e32 v10, 1, v8
	v_add_lshl_u32 v8, v8, s17, 1
	v_lshlrev_b32_e32 v11, 1, v9
	v_add_lshl_u32 v9, v9, s17, 1
	s_wait_dscnt 0x1
	s_clause 0x1
	buffer_store_b64 v[0:1], v10, s[0:3], null offen
	buffer_store_b64 v[2:3], v11, s[0:3], null offen
	s_wait_dscnt 0x0
	s_clause 0x1
	buffer_store_b64 v[6:7], v9, s[0:3], null offen
	buffer_store_b64 v[4:5], v8, s[0:3], null offen
	s_nop 0
	s_sendmsg sendmsg(MSG_DEALLOC_VGPRS)
	s_endpgm
	.section	.rodata,"a",@progbits
	.p2align	6, 0x0
	.amdhsa_kernel _ZN2ck27kernel_gemm_xdl_cshuffle_v1INS_43GridwiseGemm_k0mk1_k0nk1_mn_xdl_cshuffle_v1INS_13tensor_layout4gemm8RowMajorES4_S4_DF16_DF16_fDF16_DF16_NS_16tensor_operation12element_wise11PassThroughES7_S7_LNS5_6device18GemmSpecializationE0ELNS_25InMemoryDataOperationEnumE0ELi1ELi256ELi256ELi128ELi32ELi8ELi2ELi16ELi16ELi8ELi2ENS_8SequenceIJLi4ELi64ELi1EEEENSB_IJLi1ELi0ELi2EEEESD_Li2ELi8ELi8ELb0ELi1ENSB_IJLi8ELi32ELi1EEEENSB_IJLi0ELi2ELi1EEEESF_Li1ELi4ELi2ELb0ELi0ELi1ELi2ENSB_IJLi1ELi16ELi1ELi16EEEELi4ELNS_13LoopSchedulerE1ELNS_15PipelineVersionE0EDF16_DF16_EELb0EEEvNT_8ArgumentE
		.amdhsa_group_segment_fixed_size 24624
		.amdhsa_private_segment_fixed_size 0
		.amdhsa_kernarg_size 96
		.amdhsa_user_sgpr_count 2
		.amdhsa_user_sgpr_dispatch_ptr 0
		.amdhsa_user_sgpr_queue_ptr 0
		.amdhsa_user_sgpr_kernarg_segment_ptr 1
		.amdhsa_user_sgpr_dispatch_id 0
		.amdhsa_user_sgpr_private_segment_size 0
		.amdhsa_wavefront_size32 1
		.amdhsa_uses_dynamic_stack 0
		.amdhsa_enable_private_segment 0
		.amdhsa_system_sgpr_workgroup_id_x 1
		.amdhsa_system_sgpr_workgroup_id_y 0
		.amdhsa_system_sgpr_workgroup_id_z 0
		.amdhsa_system_sgpr_workgroup_info 0
		.amdhsa_system_vgpr_workitem_id 0
		.amdhsa_next_free_vgpr 175
		.amdhsa_next_free_sgpr 23
		.amdhsa_reserve_vcc 0
		.amdhsa_float_round_mode_32 0
		.amdhsa_float_round_mode_16_64 0
		.amdhsa_float_denorm_mode_32 3
		.amdhsa_float_denorm_mode_16_64 3
		.amdhsa_fp16_overflow 0
		.amdhsa_workgroup_processor_mode 1
		.amdhsa_memory_ordered 1
		.amdhsa_forward_progress 1
		.amdhsa_inst_pref_size 36
		.amdhsa_round_robin_scheduling 0
		.amdhsa_exception_fp_ieee_invalid_op 0
		.amdhsa_exception_fp_denorm_src 0
		.amdhsa_exception_fp_ieee_div_zero 0
		.amdhsa_exception_fp_ieee_overflow 0
		.amdhsa_exception_fp_ieee_underflow 0
		.amdhsa_exception_fp_ieee_inexact 0
		.amdhsa_exception_int_div_zero 0
	.end_amdhsa_kernel
	.section	.text._ZN2ck27kernel_gemm_xdl_cshuffle_v1INS_43GridwiseGemm_k0mk1_k0nk1_mn_xdl_cshuffle_v1INS_13tensor_layout4gemm8RowMajorES4_S4_DF16_DF16_fDF16_DF16_NS_16tensor_operation12element_wise11PassThroughES7_S7_LNS5_6device18GemmSpecializationE0ELNS_25InMemoryDataOperationEnumE0ELi1ELi256ELi256ELi128ELi32ELi8ELi2ELi16ELi16ELi8ELi2ENS_8SequenceIJLi4ELi64ELi1EEEENSB_IJLi1ELi0ELi2EEEESD_Li2ELi8ELi8ELb0ELi1ENSB_IJLi8ELi32ELi1EEEENSB_IJLi0ELi2ELi1EEEESF_Li1ELi4ELi2ELb0ELi0ELi1ELi2ENSB_IJLi1ELi16ELi1ELi16EEEELi4ELNS_13LoopSchedulerE1ELNS_15PipelineVersionE0EDF16_DF16_EELb0EEEvNT_8ArgumentE,"axG",@progbits,_ZN2ck27kernel_gemm_xdl_cshuffle_v1INS_43GridwiseGemm_k0mk1_k0nk1_mn_xdl_cshuffle_v1INS_13tensor_layout4gemm8RowMajorES4_S4_DF16_DF16_fDF16_DF16_NS_16tensor_operation12element_wise11PassThroughES7_S7_LNS5_6device18GemmSpecializationE0ELNS_25InMemoryDataOperationEnumE0ELi1ELi256ELi256ELi128ELi32ELi8ELi2ELi16ELi16ELi8ELi2ENS_8SequenceIJLi4ELi64ELi1EEEENSB_IJLi1ELi0ELi2EEEESD_Li2ELi8ELi8ELb0ELi1ENSB_IJLi8ELi32ELi1EEEENSB_IJLi0ELi2ELi1EEEESF_Li1ELi4ELi2ELb0ELi0ELi1ELi2ENSB_IJLi1ELi16ELi1ELi16EEEELi4ELNS_13LoopSchedulerE1ELNS_15PipelineVersionE0EDF16_DF16_EELb0EEEvNT_8ArgumentE,comdat
.Lfunc_end4:
	.size	_ZN2ck27kernel_gemm_xdl_cshuffle_v1INS_43GridwiseGemm_k0mk1_k0nk1_mn_xdl_cshuffle_v1INS_13tensor_layout4gemm8RowMajorES4_S4_DF16_DF16_fDF16_DF16_NS_16tensor_operation12element_wise11PassThroughES7_S7_LNS5_6device18GemmSpecializationE0ELNS_25InMemoryDataOperationEnumE0ELi1ELi256ELi256ELi128ELi32ELi8ELi2ELi16ELi16ELi8ELi2ENS_8SequenceIJLi4ELi64ELi1EEEENSB_IJLi1ELi0ELi2EEEESD_Li2ELi8ELi8ELb0ELi1ENSB_IJLi8ELi32ELi1EEEENSB_IJLi0ELi2ELi1EEEESF_Li1ELi4ELi2ELb0ELi0ELi1ELi2ENSB_IJLi1ELi16ELi1ELi16EEEELi4ELNS_13LoopSchedulerE1ELNS_15PipelineVersionE0EDF16_DF16_EELb0EEEvNT_8ArgumentE, .Lfunc_end4-_ZN2ck27kernel_gemm_xdl_cshuffle_v1INS_43GridwiseGemm_k0mk1_k0nk1_mn_xdl_cshuffle_v1INS_13tensor_layout4gemm8RowMajorES4_S4_DF16_DF16_fDF16_DF16_NS_16tensor_operation12element_wise11PassThroughES7_S7_LNS5_6device18GemmSpecializationE0ELNS_25InMemoryDataOperationEnumE0ELi1ELi256ELi256ELi128ELi32ELi8ELi2ELi16ELi16ELi8ELi2ENS_8SequenceIJLi4ELi64ELi1EEEENSB_IJLi1ELi0ELi2EEEESD_Li2ELi8ELi8ELb0ELi1ENSB_IJLi8ELi32ELi1EEEENSB_IJLi0ELi2ELi1EEEESF_Li1ELi4ELi2ELb0ELi0ELi1ELi2ENSB_IJLi1ELi16ELi1ELi16EEEELi4ELNS_13LoopSchedulerE1ELNS_15PipelineVersionE0EDF16_DF16_EELb0EEEvNT_8ArgumentE
                                        ; -- End function
	.set _ZN2ck27kernel_gemm_xdl_cshuffle_v1INS_43GridwiseGemm_k0mk1_k0nk1_mn_xdl_cshuffle_v1INS_13tensor_layout4gemm8RowMajorES4_S4_DF16_DF16_fDF16_DF16_NS_16tensor_operation12element_wise11PassThroughES7_S7_LNS5_6device18GemmSpecializationE0ELNS_25InMemoryDataOperationEnumE0ELi1ELi256ELi256ELi128ELi32ELi8ELi2ELi16ELi16ELi8ELi2ENS_8SequenceIJLi4ELi64ELi1EEEENSB_IJLi1ELi0ELi2EEEESD_Li2ELi8ELi8ELb0ELi1ENSB_IJLi8ELi32ELi1EEEENSB_IJLi0ELi2ELi1EEEESF_Li1ELi4ELi2ELb0ELi0ELi1ELi2ENSB_IJLi1ELi16ELi1ELi16EEEELi4ELNS_13LoopSchedulerE1ELNS_15PipelineVersionE0EDF16_DF16_EELb0EEEvNT_8ArgumentE.num_vgpr, 175
	.set _ZN2ck27kernel_gemm_xdl_cshuffle_v1INS_43GridwiseGemm_k0mk1_k0nk1_mn_xdl_cshuffle_v1INS_13tensor_layout4gemm8RowMajorES4_S4_DF16_DF16_fDF16_DF16_NS_16tensor_operation12element_wise11PassThroughES7_S7_LNS5_6device18GemmSpecializationE0ELNS_25InMemoryDataOperationEnumE0ELi1ELi256ELi256ELi128ELi32ELi8ELi2ELi16ELi16ELi8ELi2ENS_8SequenceIJLi4ELi64ELi1EEEENSB_IJLi1ELi0ELi2EEEESD_Li2ELi8ELi8ELb0ELi1ENSB_IJLi8ELi32ELi1EEEENSB_IJLi0ELi2ELi1EEEESF_Li1ELi4ELi2ELb0ELi0ELi1ELi2ENSB_IJLi1ELi16ELi1ELi16EEEELi4ELNS_13LoopSchedulerE1ELNS_15PipelineVersionE0EDF16_DF16_EELb0EEEvNT_8ArgumentE.num_agpr, 0
	.set _ZN2ck27kernel_gemm_xdl_cshuffle_v1INS_43GridwiseGemm_k0mk1_k0nk1_mn_xdl_cshuffle_v1INS_13tensor_layout4gemm8RowMajorES4_S4_DF16_DF16_fDF16_DF16_NS_16tensor_operation12element_wise11PassThroughES7_S7_LNS5_6device18GemmSpecializationE0ELNS_25InMemoryDataOperationEnumE0ELi1ELi256ELi256ELi128ELi32ELi8ELi2ELi16ELi16ELi8ELi2ENS_8SequenceIJLi4ELi64ELi1EEEENSB_IJLi1ELi0ELi2EEEESD_Li2ELi8ELi8ELb0ELi1ENSB_IJLi8ELi32ELi1EEEENSB_IJLi0ELi2ELi1EEEESF_Li1ELi4ELi2ELb0ELi0ELi1ELi2ENSB_IJLi1ELi16ELi1ELi16EEEELi4ELNS_13LoopSchedulerE1ELNS_15PipelineVersionE0EDF16_DF16_EELb0EEEvNT_8ArgumentE.numbered_sgpr, 23
	.set _ZN2ck27kernel_gemm_xdl_cshuffle_v1INS_43GridwiseGemm_k0mk1_k0nk1_mn_xdl_cshuffle_v1INS_13tensor_layout4gemm8RowMajorES4_S4_DF16_DF16_fDF16_DF16_NS_16tensor_operation12element_wise11PassThroughES7_S7_LNS5_6device18GemmSpecializationE0ELNS_25InMemoryDataOperationEnumE0ELi1ELi256ELi256ELi128ELi32ELi8ELi2ELi16ELi16ELi8ELi2ENS_8SequenceIJLi4ELi64ELi1EEEENSB_IJLi1ELi0ELi2EEEESD_Li2ELi8ELi8ELb0ELi1ENSB_IJLi8ELi32ELi1EEEENSB_IJLi0ELi2ELi1EEEESF_Li1ELi4ELi2ELb0ELi0ELi1ELi2ENSB_IJLi1ELi16ELi1ELi16EEEELi4ELNS_13LoopSchedulerE1ELNS_15PipelineVersionE0EDF16_DF16_EELb0EEEvNT_8ArgumentE.num_named_barrier, 0
	.set _ZN2ck27kernel_gemm_xdl_cshuffle_v1INS_43GridwiseGemm_k0mk1_k0nk1_mn_xdl_cshuffle_v1INS_13tensor_layout4gemm8RowMajorES4_S4_DF16_DF16_fDF16_DF16_NS_16tensor_operation12element_wise11PassThroughES7_S7_LNS5_6device18GemmSpecializationE0ELNS_25InMemoryDataOperationEnumE0ELi1ELi256ELi256ELi128ELi32ELi8ELi2ELi16ELi16ELi8ELi2ENS_8SequenceIJLi4ELi64ELi1EEEENSB_IJLi1ELi0ELi2EEEESD_Li2ELi8ELi8ELb0ELi1ENSB_IJLi8ELi32ELi1EEEENSB_IJLi0ELi2ELi1EEEESF_Li1ELi4ELi2ELb0ELi0ELi1ELi2ENSB_IJLi1ELi16ELi1ELi16EEEELi4ELNS_13LoopSchedulerE1ELNS_15PipelineVersionE0EDF16_DF16_EELb0EEEvNT_8ArgumentE.private_seg_size, 0
	.set _ZN2ck27kernel_gemm_xdl_cshuffle_v1INS_43GridwiseGemm_k0mk1_k0nk1_mn_xdl_cshuffle_v1INS_13tensor_layout4gemm8RowMajorES4_S4_DF16_DF16_fDF16_DF16_NS_16tensor_operation12element_wise11PassThroughES7_S7_LNS5_6device18GemmSpecializationE0ELNS_25InMemoryDataOperationEnumE0ELi1ELi256ELi256ELi128ELi32ELi8ELi2ELi16ELi16ELi8ELi2ENS_8SequenceIJLi4ELi64ELi1EEEENSB_IJLi1ELi0ELi2EEEESD_Li2ELi8ELi8ELb0ELi1ENSB_IJLi8ELi32ELi1EEEENSB_IJLi0ELi2ELi1EEEESF_Li1ELi4ELi2ELb0ELi0ELi1ELi2ENSB_IJLi1ELi16ELi1ELi16EEEELi4ELNS_13LoopSchedulerE1ELNS_15PipelineVersionE0EDF16_DF16_EELb0EEEvNT_8ArgumentE.uses_vcc, 0
	.set _ZN2ck27kernel_gemm_xdl_cshuffle_v1INS_43GridwiseGemm_k0mk1_k0nk1_mn_xdl_cshuffle_v1INS_13tensor_layout4gemm8RowMajorES4_S4_DF16_DF16_fDF16_DF16_NS_16tensor_operation12element_wise11PassThroughES7_S7_LNS5_6device18GemmSpecializationE0ELNS_25InMemoryDataOperationEnumE0ELi1ELi256ELi256ELi128ELi32ELi8ELi2ELi16ELi16ELi8ELi2ENS_8SequenceIJLi4ELi64ELi1EEEENSB_IJLi1ELi0ELi2EEEESD_Li2ELi8ELi8ELb0ELi1ENSB_IJLi8ELi32ELi1EEEENSB_IJLi0ELi2ELi1EEEESF_Li1ELi4ELi2ELb0ELi0ELi1ELi2ENSB_IJLi1ELi16ELi1ELi16EEEELi4ELNS_13LoopSchedulerE1ELNS_15PipelineVersionE0EDF16_DF16_EELb0EEEvNT_8ArgumentE.uses_flat_scratch, 0
	.set _ZN2ck27kernel_gemm_xdl_cshuffle_v1INS_43GridwiseGemm_k0mk1_k0nk1_mn_xdl_cshuffle_v1INS_13tensor_layout4gemm8RowMajorES4_S4_DF16_DF16_fDF16_DF16_NS_16tensor_operation12element_wise11PassThroughES7_S7_LNS5_6device18GemmSpecializationE0ELNS_25InMemoryDataOperationEnumE0ELi1ELi256ELi256ELi128ELi32ELi8ELi2ELi16ELi16ELi8ELi2ENS_8SequenceIJLi4ELi64ELi1EEEENSB_IJLi1ELi0ELi2EEEESD_Li2ELi8ELi8ELb0ELi1ENSB_IJLi8ELi32ELi1EEEENSB_IJLi0ELi2ELi1EEEESF_Li1ELi4ELi2ELb0ELi0ELi1ELi2ENSB_IJLi1ELi16ELi1ELi16EEEELi4ELNS_13LoopSchedulerE1ELNS_15PipelineVersionE0EDF16_DF16_EELb0EEEvNT_8ArgumentE.has_dyn_sized_stack, 0
	.set _ZN2ck27kernel_gemm_xdl_cshuffle_v1INS_43GridwiseGemm_k0mk1_k0nk1_mn_xdl_cshuffle_v1INS_13tensor_layout4gemm8RowMajorES4_S4_DF16_DF16_fDF16_DF16_NS_16tensor_operation12element_wise11PassThroughES7_S7_LNS5_6device18GemmSpecializationE0ELNS_25InMemoryDataOperationEnumE0ELi1ELi256ELi256ELi128ELi32ELi8ELi2ELi16ELi16ELi8ELi2ENS_8SequenceIJLi4ELi64ELi1EEEENSB_IJLi1ELi0ELi2EEEESD_Li2ELi8ELi8ELb0ELi1ENSB_IJLi8ELi32ELi1EEEENSB_IJLi0ELi2ELi1EEEESF_Li1ELi4ELi2ELb0ELi0ELi1ELi2ENSB_IJLi1ELi16ELi1ELi16EEEELi4ELNS_13LoopSchedulerE1ELNS_15PipelineVersionE0EDF16_DF16_EELb0EEEvNT_8ArgumentE.has_recursion, 0
	.set _ZN2ck27kernel_gemm_xdl_cshuffle_v1INS_43GridwiseGemm_k0mk1_k0nk1_mn_xdl_cshuffle_v1INS_13tensor_layout4gemm8RowMajorES4_S4_DF16_DF16_fDF16_DF16_NS_16tensor_operation12element_wise11PassThroughES7_S7_LNS5_6device18GemmSpecializationE0ELNS_25InMemoryDataOperationEnumE0ELi1ELi256ELi256ELi128ELi32ELi8ELi2ELi16ELi16ELi8ELi2ENS_8SequenceIJLi4ELi64ELi1EEEENSB_IJLi1ELi0ELi2EEEESD_Li2ELi8ELi8ELb0ELi1ENSB_IJLi8ELi32ELi1EEEENSB_IJLi0ELi2ELi1EEEESF_Li1ELi4ELi2ELb0ELi0ELi1ELi2ENSB_IJLi1ELi16ELi1ELi16EEEELi4ELNS_13LoopSchedulerE1ELNS_15PipelineVersionE0EDF16_DF16_EELb0EEEvNT_8ArgumentE.has_indirect_call, 0
	.section	.AMDGPU.csdata,"",@progbits
; Kernel info:
; codeLenInByte = 4556
; TotalNumSgprs: 23
; NumVgprs: 175
; ScratchSize: 0
; MemoryBound: 0
; FloatMode: 240
; IeeeMode: 1
; LDSByteSize: 24624 bytes/workgroup (compile time only)
; SGPRBlocks: 0
; VGPRBlocks: 21
; NumSGPRsForWavesPerEU: 23
; NumVGPRsForWavesPerEU: 175
; Occupancy: 8
; WaveLimiterHint : 0
; COMPUTE_PGM_RSRC2:SCRATCH_EN: 0
; COMPUTE_PGM_RSRC2:USER_SGPR: 2
; COMPUTE_PGM_RSRC2:TRAP_HANDLER: 0
; COMPUTE_PGM_RSRC2:TGID_X_EN: 1
; COMPUTE_PGM_RSRC2:TGID_Y_EN: 0
; COMPUTE_PGM_RSRC2:TGID_Z_EN: 0
; COMPUTE_PGM_RSRC2:TIDIG_COMP_CNT: 0
	.section	.text._ZN2ck17naive_gemm_kernelINS_13tensor_layout4gemm8RowMajorES3_S3_DF16_DF16_DF16_fNS_16tensor_operation12element_wise11PassThroughES6_S6_DF16_DF16_EEvPKT2_PKT3_PT4_iiiT6_T7_T8_,"axG",@progbits,_ZN2ck17naive_gemm_kernelINS_13tensor_layout4gemm8RowMajorES3_S3_DF16_DF16_DF16_fNS_16tensor_operation12element_wise11PassThroughES6_S6_DF16_DF16_EEvPKT2_PKT3_PT4_iiiT6_T7_T8_,comdat
	.protected	_ZN2ck17naive_gemm_kernelINS_13tensor_layout4gemm8RowMajorES3_S3_DF16_DF16_DF16_fNS_16tensor_operation12element_wise11PassThroughES6_S6_DF16_DF16_EEvPKT2_PKT3_PT4_iiiT6_T7_T8_ ; -- Begin function _ZN2ck17naive_gemm_kernelINS_13tensor_layout4gemm8RowMajorES3_S3_DF16_DF16_DF16_fNS_16tensor_operation12element_wise11PassThroughES6_S6_DF16_DF16_EEvPKT2_PKT3_PT4_iiiT6_T7_T8_
	.globl	_ZN2ck17naive_gemm_kernelINS_13tensor_layout4gemm8RowMajorES3_S3_DF16_DF16_DF16_fNS_16tensor_operation12element_wise11PassThroughES6_S6_DF16_DF16_EEvPKT2_PKT3_PT4_iiiT6_T7_T8_
	.p2align	8
	.type	_ZN2ck17naive_gemm_kernelINS_13tensor_layout4gemm8RowMajorES3_S3_DF16_DF16_DF16_fNS_16tensor_operation12element_wise11PassThroughES6_S6_DF16_DF16_EEvPKT2_PKT3_PT4_iiiT6_T7_T8_,@function
_ZN2ck17naive_gemm_kernelINS_13tensor_layout4gemm8RowMajorES3_S3_DF16_DF16_DF16_fNS_16tensor_operation12element_wise11PassThroughES6_S6_DF16_DF16_EEvPKT2_PKT3_PT4_iiiT6_T7_T8_: ; @_ZN2ck17naive_gemm_kernelINS_13tensor_layout4gemm8RowMajorES3_S3_DF16_DF16_DF16_fNS_16tensor_operation12element_wise11PassThroughES6_S6_DF16_DF16_EEvPKT2_PKT3_PT4_iiiT6_T7_T8_
; %bb.0:
	s_clause 0x1
	s_load_b32 s2, s[0:1], 0x34
	s_load_b96 s[4:6], s[0:1], 0x18
	v_and_b32_e32 v1, 0x3ff, v0
	v_bfe_u32 v2, v0, 10, 10
	s_wait_kmcnt 0x0
	s_lshr_b32 s3, s2, 16
	s_and_b32 s2, s2, 0xffff
	s_delay_alu instid0(VALU_DEP_1) | instid1(SALU_CYCLE_1)
	v_mad_co_u64_u32 v[0:1], null, ttmp9, s2, v[1:2]
	v_mad_co_u64_u32 v[1:2], null, ttmp7, s3, v[2:3]
	s_delay_alu instid0(VALU_DEP_2) | instskip(NEXT) | instid1(VALU_DEP_2)
	v_cmp_gt_i32_e32 vcc_lo, s4, v0
	v_cmp_gt_i32_e64 s2, s5, v1
	s_and_b32 s2, vcc_lo, s2
	s_wait_alu 0xfffe
	s_and_saveexec_b32 s3, s2
	s_cbranch_execz .LBB5_7
; %bb.1:
	s_load_b64 s[8:9], s[0:1], 0x10
	s_cmp_lt_i32 s6, 1
	s_cbranch_scc1 .LBB5_5
; %bb.2:
	s_load_b128 s[0:3], s[0:1], 0x0
	v_mul_lo_u32 v2, v0, s6
	v_mov_b32_e32 v6, 0
	v_mov_b32_e32 v4, v1
	s_delay_alu instid0(VALU_DEP_3) | instskip(NEXT) | instid1(VALU_DEP_1)
	v_ashrrev_i32_e32 v3, 31, v2
	v_lshlrev_b64_e32 v[2:3], 1, v[2:3]
	s_wait_kmcnt 0x0
	s_delay_alu instid0(VALU_DEP_1) | instskip(NEXT) | instid1(VALU_DEP_1)
	v_add_co_u32 v2, vcc_lo, s0, v2
	v_add_co_ci_u32_e64 v3, null, s1, v3, vcc_lo
.LBB5_3:                                ; =>This Inner Loop Header: Depth=1
	v_ashrrev_i32_e32 v5, 31, v4
	s_add_co_i32 s6, s6, -1
	s_wait_alu 0xfffe
	s_cmp_eq_u32 s6, 0
	s_delay_alu instid0(VALU_DEP_1) | instskip(SKIP_1) | instid1(VALU_DEP_2)
	v_lshlrev_b64_e32 v[7:8], 1, v[4:5]
	v_add_nc_u32_e32 v4, s5, v4
	v_add_co_u32 v7, vcc_lo, s2, v7
	s_wait_alu 0xfffd
	s_delay_alu instid0(VALU_DEP_3)
	v_add_co_ci_u32_e64 v8, null, s3, v8, vcc_lo
	global_load_u16 v5, v[2:3], off
	global_load_u16 v7, v[7:8], off
	v_add_co_u32 v2, vcc_lo, v2, 2
	s_wait_alu 0xfffd
	v_add_co_ci_u32_e64 v3, null, 0, v3, vcc_lo
	s_wait_loadcnt 0x0
	v_fma_mix_f32 v6, v5, v7, v6 op_sel_hi:[1,1,0]
	s_cbranch_scc0 .LBB5_3
; %bb.4:
	s_delay_alu instid0(VALU_DEP_1)
	v_cvt_f16_f32_e32 v2, v6
	s_branch .LBB5_6
.LBB5_5:
	v_mov_b32_e32 v2, 0
.LBB5_6:
	s_delay_alu instid0(VALU_DEP_1) | instskip(NEXT) | instid1(VALU_DEP_1)
	v_mad_co_u64_u32 v[0:1], null, v0, s5, v[1:2]
	v_ashrrev_i32_e32 v1, 31, v0
	s_delay_alu instid0(VALU_DEP_1) | instskip(SKIP_1) | instid1(VALU_DEP_1)
	v_lshlrev_b64_e32 v[0:1], 1, v[0:1]
	s_wait_kmcnt 0x0
	v_add_co_u32 v0, vcc_lo, s8, v0
	s_wait_alu 0xfffd
	s_delay_alu instid0(VALU_DEP_2)
	v_add_co_ci_u32_e64 v1, null, s9, v1, vcc_lo
	global_store_b16 v[0:1], v2, off
.LBB5_7:
	s_endpgm
	.section	.rodata,"a",@progbits
	.p2align	6, 0x0
	.amdhsa_kernel _ZN2ck17naive_gemm_kernelINS_13tensor_layout4gemm8RowMajorES3_S3_DF16_DF16_DF16_fNS_16tensor_operation12element_wise11PassThroughES6_S6_DF16_DF16_EEvPKT2_PKT3_PT4_iiiT6_T7_T8_
		.amdhsa_group_segment_fixed_size 0
		.amdhsa_private_segment_fixed_size 0
		.amdhsa_kernarg_size 296
		.amdhsa_user_sgpr_count 2
		.amdhsa_user_sgpr_dispatch_ptr 0
		.amdhsa_user_sgpr_queue_ptr 0
		.amdhsa_user_sgpr_kernarg_segment_ptr 1
		.amdhsa_user_sgpr_dispatch_id 0
		.amdhsa_user_sgpr_private_segment_size 0
		.amdhsa_wavefront_size32 1
		.amdhsa_uses_dynamic_stack 0
		.amdhsa_enable_private_segment 0
		.amdhsa_system_sgpr_workgroup_id_x 1
		.amdhsa_system_sgpr_workgroup_id_y 1
		.amdhsa_system_sgpr_workgroup_id_z 0
		.amdhsa_system_sgpr_workgroup_info 0
		.amdhsa_system_vgpr_workitem_id 1
		.amdhsa_next_free_vgpr 9
		.amdhsa_next_free_sgpr 10
		.amdhsa_reserve_vcc 1
		.amdhsa_float_round_mode_32 0
		.amdhsa_float_round_mode_16_64 0
		.amdhsa_float_denorm_mode_32 3
		.amdhsa_float_denorm_mode_16_64 3
		.amdhsa_fp16_overflow 0
		.amdhsa_workgroup_processor_mode 1
		.amdhsa_memory_ordered 1
		.amdhsa_forward_progress 1
		.amdhsa_inst_pref_size 3
		.amdhsa_round_robin_scheduling 0
		.amdhsa_exception_fp_ieee_invalid_op 0
		.amdhsa_exception_fp_denorm_src 0
		.amdhsa_exception_fp_ieee_div_zero 0
		.amdhsa_exception_fp_ieee_overflow 0
		.amdhsa_exception_fp_ieee_underflow 0
		.amdhsa_exception_fp_ieee_inexact 0
		.amdhsa_exception_int_div_zero 0
	.end_amdhsa_kernel
	.section	.text._ZN2ck17naive_gemm_kernelINS_13tensor_layout4gemm8RowMajorES3_S3_DF16_DF16_DF16_fNS_16tensor_operation12element_wise11PassThroughES6_S6_DF16_DF16_EEvPKT2_PKT3_PT4_iiiT6_T7_T8_,"axG",@progbits,_ZN2ck17naive_gemm_kernelINS_13tensor_layout4gemm8RowMajorES3_S3_DF16_DF16_DF16_fNS_16tensor_operation12element_wise11PassThroughES6_S6_DF16_DF16_EEvPKT2_PKT3_PT4_iiiT6_T7_T8_,comdat
.Lfunc_end5:
	.size	_ZN2ck17naive_gemm_kernelINS_13tensor_layout4gemm8RowMajorES3_S3_DF16_DF16_DF16_fNS_16tensor_operation12element_wise11PassThroughES6_S6_DF16_DF16_EEvPKT2_PKT3_PT4_iiiT6_T7_T8_, .Lfunc_end5-_ZN2ck17naive_gemm_kernelINS_13tensor_layout4gemm8RowMajorES3_S3_DF16_DF16_DF16_fNS_16tensor_operation12element_wise11PassThroughES6_S6_DF16_DF16_EEvPKT2_PKT3_PT4_iiiT6_T7_T8_
                                        ; -- End function
	.set _ZN2ck17naive_gemm_kernelINS_13tensor_layout4gemm8RowMajorES3_S3_DF16_DF16_DF16_fNS_16tensor_operation12element_wise11PassThroughES6_S6_DF16_DF16_EEvPKT2_PKT3_PT4_iiiT6_T7_T8_.num_vgpr, 9
	.set _ZN2ck17naive_gemm_kernelINS_13tensor_layout4gemm8RowMajorES3_S3_DF16_DF16_DF16_fNS_16tensor_operation12element_wise11PassThroughES6_S6_DF16_DF16_EEvPKT2_PKT3_PT4_iiiT6_T7_T8_.num_agpr, 0
	.set _ZN2ck17naive_gemm_kernelINS_13tensor_layout4gemm8RowMajorES3_S3_DF16_DF16_DF16_fNS_16tensor_operation12element_wise11PassThroughES6_S6_DF16_DF16_EEvPKT2_PKT3_PT4_iiiT6_T7_T8_.numbered_sgpr, 10
	.set _ZN2ck17naive_gemm_kernelINS_13tensor_layout4gemm8RowMajorES3_S3_DF16_DF16_DF16_fNS_16tensor_operation12element_wise11PassThroughES6_S6_DF16_DF16_EEvPKT2_PKT3_PT4_iiiT6_T7_T8_.num_named_barrier, 0
	.set _ZN2ck17naive_gemm_kernelINS_13tensor_layout4gemm8RowMajorES3_S3_DF16_DF16_DF16_fNS_16tensor_operation12element_wise11PassThroughES6_S6_DF16_DF16_EEvPKT2_PKT3_PT4_iiiT6_T7_T8_.private_seg_size, 0
	.set _ZN2ck17naive_gemm_kernelINS_13tensor_layout4gemm8RowMajorES3_S3_DF16_DF16_DF16_fNS_16tensor_operation12element_wise11PassThroughES6_S6_DF16_DF16_EEvPKT2_PKT3_PT4_iiiT6_T7_T8_.uses_vcc, 1
	.set _ZN2ck17naive_gemm_kernelINS_13tensor_layout4gemm8RowMajorES3_S3_DF16_DF16_DF16_fNS_16tensor_operation12element_wise11PassThroughES6_S6_DF16_DF16_EEvPKT2_PKT3_PT4_iiiT6_T7_T8_.uses_flat_scratch, 0
	.set _ZN2ck17naive_gemm_kernelINS_13tensor_layout4gemm8RowMajorES3_S3_DF16_DF16_DF16_fNS_16tensor_operation12element_wise11PassThroughES6_S6_DF16_DF16_EEvPKT2_PKT3_PT4_iiiT6_T7_T8_.has_dyn_sized_stack, 0
	.set _ZN2ck17naive_gemm_kernelINS_13tensor_layout4gemm8RowMajorES3_S3_DF16_DF16_DF16_fNS_16tensor_operation12element_wise11PassThroughES6_S6_DF16_DF16_EEvPKT2_PKT3_PT4_iiiT6_T7_T8_.has_recursion, 0
	.set _ZN2ck17naive_gemm_kernelINS_13tensor_layout4gemm8RowMajorES3_S3_DF16_DF16_DF16_fNS_16tensor_operation12element_wise11PassThroughES6_S6_DF16_DF16_EEvPKT2_PKT3_PT4_iiiT6_T7_T8_.has_indirect_call, 0
	.section	.AMDGPU.csdata,"",@progbits
; Kernel info:
; codeLenInByte = 376
; TotalNumSgprs: 12
; NumVgprs: 9
; ScratchSize: 0
; MemoryBound: 0
; FloatMode: 240
; IeeeMode: 1
; LDSByteSize: 0 bytes/workgroup (compile time only)
; SGPRBlocks: 0
; VGPRBlocks: 1
; NumSGPRsForWavesPerEU: 12
; NumVGPRsForWavesPerEU: 9
; Occupancy: 16
; WaveLimiterHint : 0
; COMPUTE_PGM_RSRC2:SCRATCH_EN: 0
; COMPUTE_PGM_RSRC2:USER_SGPR: 2
; COMPUTE_PGM_RSRC2:TRAP_HANDLER: 0
; COMPUTE_PGM_RSRC2:TGID_X_EN: 1
; COMPUTE_PGM_RSRC2:TGID_Y_EN: 1
; COMPUTE_PGM_RSRC2:TGID_Z_EN: 0
; COMPUTE_PGM_RSRC2:TIDIG_COMP_CNT: 1
	.section	.AMDGPU.gpr_maximums,"",@progbits
	.set amdgpu.max_num_vgpr, 0
	.set amdgpu.max_num_agpr, 0
	.set amdgpu.max_num_sgpr, 0
	.section	.AMDGPU.csdata,"",@progbits
	.type	__hip_cuid_6d93b23580a8480a,@object ; @__hip_cuid_6d93b23580a8480a
	.section	.bss,"aw",@nobits
	.globl	__hip_cuid_6d93b23580a8480a
__hip_cuid_6d93b23580a8480a:
	.byte	0                               ; 0x0
	.size	__hip_cuid_6d93b23580a8480a, 1

	.ident	"AMD clang version 22.0.0git (https://github.com/RadeonOpenCompute/llvm-project roc-7.2.4 26084 f58b06dce1f9c15707c5f808fd002e18c2accf7e)"
	.section	".note.GNU-stack","",@progbits
	.addrsig
	.addrsig_sym __hip_cuid_6d93b23580a8480a
	.amdgpu_metadata
---
amdhsa.kernels:
  - .args:           []
    .group_segment_fixed_size: 0
    .kernarg_segment_align: 4
    .kernarg_segment_size: 0
    .language:       OpenCL C
    .language_version:
      - 2
      - 0
    .max_flat_workgroup_size: 1024
    .name:           _ZN2ckL12flush_icacheEv
    .private_segment_fixed_size: 0
    .sgpr_count:     0
    .sgpr_spill_count: 0
    .symbol:         _ZN2ckL12flush_icacheEv.kd
    .uniform_work_group_size: 1
    .uses_dynamic_stack: false
    .vgpr_count:     0
    .vgpr_spill_count: 0
    .wavefront_size: 32
    .workgroup_processor_mode: 1
  - .args:
      - .offset:         0
        .size:           96
        .value_kind:     by_value
    .group_segment_fixed_size: 0
    .kernarg_segment_align: 8
    .kernarg_segment_size: 96
    .language:       OpenCL C
    .language_version:
      - 2
      - 0
    .max_flat_workgroup_size: 256
    .name:           _ZN2ck27kernel_gemm_xdl_cshuffle_v1INS_43GridwiseGemm_k0mk1_k0nk1_mn_xdl_cshuffle_v1INS_13tensor_layout4gemm8RowMajorES4_S4_DF16_DF16_fDF16_DF16_NS_16tensor_operation12element_wise11PassThroughES7_S7_LNS5_6device18GemmSpecializationE0ELNS_25InMemoryDataOperationEnumE0ELi1ELi256ELi256ELi128ELi32ELi8ELi2ELi16ELi16ELi8ELi4ENS_8SequenceIJLi4ELi64ELi1EEEENSB_IJLi1ELi0ELi2EEEESD_Li2ELi8ELi8ELb0ELi1ENSB_IJLi8ELi32ELi1EEEENSB_IJLi0ELi2ELi1EEEESF_Li1ELi4ELi2ELb0ELi0ELi1ELi2ENSB_IJLi1ELi16ELi1ELi16EEEELi4ELNS_13LoopSchedulerE1ELNS_15PipelineVersionE0EDF16_DF16_EELb1EEEvNT_8ArgumentE
    .private_segment_fixed_size: 0
    .sgpr_count:     0
    .sgpr_spill_count: 0
    .symbol:         _ZN2ck27kernel_gemm_xdl_cshuffle_v1INS_43GridwiseGemm_k0mk1_k0nk1_mn_xdl_cshuffle_v1INS_13tensor_layout4gemm8RowMajorES4_S4_DF16_DF16_fDF16_DF16_NS_16tensor_operation12element_wise11PassThroughES7_S7_LNS5_6device18GemmSpecializationE0ELNS_25InMemoryDataOperationEnumE0ELi1ELi256ELi256ELi128ELi32ELi8ELi2ELi16ELi16ELi8ELi4ENS_8SequenceIJLi4ELi64ELi1EEEENSB_IJLi1ELi0ELi2EEEESD_Li2ELi8ELi8ELb0ELi1ENSB_IJLi8ELi32ELi1EEEENSB_IJLi0ELi2ELi1EEEESF_Li1ELi4ELi2ELb0ELi0ELi1ELi2ENSB_IJLi1ELi16ELi1ELi16EEEELi4ELNS_13LoopSchedulerE1ELNS_15PipelineVersionE0EDF16_DF16_EELb1EEEvNT_8ArgumentE.kd
    .uniform_work_group_size: 1
    .uses_dynamic_stack: false
    .vgpr_count:     0
    .vgpr_spill_count: 0
    .wavefront_size: 32
    .workgroup_processor_mode: 1
  - .args:
      - .offset:         0
        .size:           96
        .value_kind:     by_value
    .group_segment_fixed_size: 0
    .kernarg_segment_align: 8
    .kernarg_segment_size: 96
    .language:       OpenCL C
    .language_version:
      - 2
      - 0
    .max_flat_workgroup_size: 256
    .name:           _ZN2ck27kernel_gemm_xdl_cshuffle_v1INS_43GridwiseGemm_k0mk1_k0nk1_mn_xdl_cshuffle_v1INS_13tensor_layout4gemm8RowMajorES4_S4_DF16_DF16_fDF16_DF16_NS_16tensor_operation12element_wise11PassThroughES7_S7_LNS5_6device18GemmSpecializationE0ELNS_25InMemoryDataOperationEnumE0ELi1ELi256ELi256ELi128ELi32ELi8ELi2ELi16ELi16ELi8ELi4ENS_8SequenceIJLi4ELi64ELi1EEEENSB_IJLi1ELi0ELi2EEEESD_Li2ELi8ELi8ELb0ELi1ENSB_IJLi8ELi32ELi1EEEENSB_IJLi0ELi2ELi1EEEESF_Li1ELi4ELi2ELb0ELi0ELi1ELi2ENSB_IJLi1ELi16ELi1ELi16EEEELi4ELNS_13LoopSchedulerE1ELNS_15PipelineVersionE0EDF16_DF16_EELb0EEEvNT_8ArgumentE
    .private_segment_fixed_size: 0
    .sgpr_count:     0
    .sgpr_spill_count: 0
    .symbol:         _ZN2ck27kernel_gemm_xdl_cshuffle_v1INS_43GridwiseGemm_k0mk1_k0nk1_mn_xdl_cshuffle_v1INS_13tensor_layout4gemm8RowMajorES4_S4_DF16_DF16_fDF16_DF16_NS_16tensor_operation12element_wise11PassThroughES7_S7_LNS5_6device18GemmSpecializationE0ELNS_25InMemoryDataOperationEnumE0ELi1ELi256ELi256ELi128ELi32ELi8ELi2ELi16ELi16ELi8ELi4ENS_8SequenceIJLi4ELi64ELi1EEEENSB_IJLi1ELi0ELi2EEEESD_Li2ELi8ELi8ELb0ELi1ENSB_IJLi8ELi32ELi1EEEENSB_IJLi0ELi2ELi1EEEESF_Li1ELi4ELi2ELb0ELi0ELi1ELi2ENSB_IJLi1ELi16ELi1ELi16EEEELi4ELNS_13LoopSchedulerE1ELNS_15PipelineVersionE0EDF16_DF16_EELb0EEEvNT_8ArgumentE.kd
    .uniform_work_group_size: 1
    .uses_dynamic_stack: false
    .vgpr_count:     0
    .vgpr_spill_count: 0
    .wavefront_size: 32
    .workgroup_processor_mode: 1
  - .args:
      - .offset:         0
        .size:           96
        .value_kind:     by_value
    .group_segment_fixed_size: 24624
    .kernarg_segment_align: 8
    .kernarg_segment_size: 96
    .language:       OpenCL C
    .language_version:
      - 2
      - 0
    .max_flat_workgroup_size: 256
    .name:           _ZN2ck27kernel_gemm_xdl_cshuffle_v1INS_43GridwiseGemm_k0mk1_k0nk1_mn_xdl_cshuffle_v1INS_13tensor_layout4gemm8RowMajorES4_S4_DF16_DF16_fDF16_DF16_NS_16tensor_operation12element_wise11PassThroughES7_S7_LNS5_6device18GemmSpecializationE0ELNS_25InMemoryDataOperationEnumE0ELi1ELi256ELi256ELi128ELi32ELi8ELi2ELi16ELi16ELi8ELi2ENS_8SequenceIJLi4ELi64ELi1EEEENSB_IJLi1ELi0ELi2EEEESD_Li2ELi8ELi8ELb0ELi1ENSB_IJLi8ELi32ELi1EEEENSB_IJLi0ELi2ELi1EEEESF_Li1ELi4ELi2ELb0ELi0ELi1ELi2ENSB_IJLi1ELi16ELi1ELi16EEEELi4ELNS_13LoopSchedulerE1ELNS_15PipelineVersionE0EDF16_DF16_EELb1EEEvNT_8ArgumentE
    .private_segment_fixed_size: 0
    .sgpr_count:     28
    .sgpr_spill_count: 0
    .symbol:         _ZN2ck27kernel_gemm_xdl_cshuffle_v1INS_43GridwiseGemm_k0mk1_k0nk1_mn_xdl_cshuffle_v1INS_13tensor_layout4gemm8RowMajorES4_S4_DF16_DF16_fDF16_DF16_NS_16tensor_operation12element_wise11PassThroughES7_S7_LNS5_6device18GemmSpecializationE0ELNS_25InMemoryDataOperationEnumE0ELi1ELi256ELi256ELi128ELi32ELi8ELi2ELi16ELi16ELi8ELi2ENS_8SequenceIJLi4ELi64ELi1EEEENSB_IJLi1ELi0ELi2EEEESD_Li2ELi8ELi8ELb0ELi1ENSB_IJLi8ELi32ELi1EEEENSB_IJLi0ELi2ELi1EEEESF_Li1ELi4ELi2ELb0ELi0ELi1ELi2ENSB_IJLi1ELi16ELi1ELi16EEEELi4ELNS_13LoopSchedulerE1ELNS_15PipelineVersionE0EDF16_DF16_EELb1EEEvNT_8ArgumentE.kd
    .uniform_work_group_size: 1
    .uses_dynamic_stack: false
    .vgpr_count:     249
    .vgpr_spill_count: 0
    .wavefront_size: 32
    .workgroup_processor_mode: 1
  - .args:
      - .offset:         0
        .size:           96
        .value_kind:     by_value
    .group_segment_fixed_size: 24624
    .kernarg_segment_align: 8
    .kernarg_segment_size: 96
    .language:       OpenCL C
    .language_version:
      - 2
      - 0
    .max_flat_workgroup_size: 256
    .name:           _ZN2ck27kernel_gemm_xdl_cshuffle_v1INS_43GridwiseGemm_k0mk1_k0nk1_mn_xdl_cshuffle_v1INS_13tensor_layout4gemm8RowMajorES4_S4_DF16_DF16_fDF16_DF16_NS_16tensor_operation12element_wise11PassThroughES7_S7_LNS5_6device18GemmSpecializationE0ELNS_25InMemoryDataOperationEnumE0ELi1ELi256ELi256ELi128ELi32ELi8ELi2ELi16ELi16ELi8ELi2ENS_8SequenceIJLi4ELi64ELi1EEEENSB_IJLi1ELi0ELi2EEEESD_Li2ELi8ELi8ELb0ELi1ENSB_IJLi8ELi32ELi1EEEENSB_IJLi0ELi2ELi1EEEESF_Li1ELi4ELi2ELb0ELi0ELi1ELi2ENSB_IJLi1ELi16ELi1ELi16EEEELi4ELNS_13LoopSchedulerE1ELNS_15PipelineVersionE0EDF16_DF16_EELb0EEEvNT_8ArgumentE
    .private_segment_fixed_size: 0
    .sgpr_count:     23
    .sgpr_spill_count: 0
    .symbol:         _ZN2ck27kernel_gemm_xdl_cshuffle_v1INS_43GridwiseGemm_k0mk1_k0nk1_mn_xdl_cshuffle_v1INS_13tensor_layout4gemm8RowMajorES4_S4_DF16_DF16_fDF16_DF16_NS_16tensor_operation12element_wise11PassThroughES7_S7_LNS5_6device18GemmSpecializationE0ELNS_25InMemoryDataOperationEnumE0ELi1ELi256ELi256ELi128ELi32ELi8ELi2ELi16ELi16ELi8ELi2ENS_8SequenceIJLi4ELi64ELi1EEEENSB_IJLi1ELi0ELi2EEEESD_Li2ELi8ELi8ELb0ELi1ENSB_IJLi8ELi32ELi1EEEENSB_IJLi0ELi2ELi1EEEESF_Li1ELi4ELi2ELb0ELi0ELi1ELi2ENSB_IJLi1ELi16ELi1ELi16EEEELi4ELNS_13LoopSchedulerE1ELNS_15PipelineVersionE0EDF16_DF16_EELb0EEEvNT_8ArgumentE.kd
    .uniform_work_group_size: 1
    .uses_dynamic_stack: false
    .vgpr_count:     175
    .vgpr_spill_count: 0
    .wavefront_size: 32
    .workgroup_processor_mode: 1
  - .args:
      - .actual_access:  read_only
        .address_space:  global
        .offset:         0
        .size:           8
        .value_kind:     global_buffer
      - .actual_access:  read_only
        .address_space:  global
        .offset:         8
        .size:           8
        .value_kind:     global_buffer
      - .actual_access:  write_only
        .address_space:  global
        .offset:         16
        .size:           8
        .value_kind:     global_buffer
      - .offset:         24
        .size:           4
        .value_kind:     by_value
      - .offset:         28
        .size:           4
        .value_kind:     by_value
      - .offset:         32
        .size:           4
        .value_kind:     by_value
      - .offset:         36
        .size:           1
        .value_kind:     by_value
      - .offset:         37
        .size:           1
        .value_kind:     by_value
      - .offset:         38
        .size:           1
        .value_kind:     by_value
      - .offset:         40
        .size:           4
        .value_kind:     hidden_block_count_x
      - .offset:         44
        .size:           4
        .value_kind:     hidden_block_count_y
      - .offset:         48
        .size:           4
        .value_kind:     hidden_block_count_z
      - .offset:         52
        .size:           2
        .value_kind:     hidden_group_size_x
      - .offset:         54
        .size:           2
        .value_kind:     hidden_group_size_y
      - .offset:         56
        .size:           2
        .value_kind:     hidden_group_size_z
      - .offset:         58
        .size:           2
        .value_kind:     hidden_remainder_x
      - .offset:         60
        .size:           2
        .value_kind:     hidden_remainder_y
      - .offset:         62
        .size:           2
        .value_kind:     hidden_remainder_z
      - .offset:         80
        .size:           8
        .value_kind:     hidden_global_offset_x
      - .offset:         88
        .size:           8
        .value_kind:     hidden_global_offset_y
      - .offset:         96
        .size:           8
        .value_kind:     hidden_global_offset_z
      - .offset:         104
        .size:           2
        .value_kind:     hidden_grid_dims
    .group_segment_fixed_size: 0
    .kernarg_segment_align: 8
    .kernarg_segment_size: 296
    .language:       OpenCL C
    .language_version:
      - 2
      - 0
    .max_flat_workgroup_size: 256
    .name:           _ZN2ck17naive_gemm_kernelINS_13tensor_layout4gemm8RowMajorES3_S3_DF16_DF16_DF16_fNS_16tensor_operation12element_wise11PassThroughES6_S6_DF16_DF16_EEvPKT2_PKT3_PT4_iiiT6_T7_T8_
    .private_segment_fixed_size: 0
    .sgpr_count:     12
    .sgpr_spill_count: 0
    .symbol:         _ZN2ck17naive_gemm_kernelINS_13tensor_layout4gemm8RowMajorES3_S3_DF16_DF16_DF16_fNS_16tensor_operation12element_wise11PassThroughES6_S6_DF16_DF16_EEvPKT2_PKT3_PT4_iiiT6_T7_T8_.kd
    .uniform_work_group_size: 1
    .uses_dynamic_stack: false
    .vgpr_count:     9
    .vgpr_spill_count: 0
    .wavefront_size: 32
    .workgroup_processor_mode: 1
amdhsa.target:   amdgcn-amd-amdhsa--gfx1201
amdhsa.version:
  - 1
  - 2
...

	.end_amdgpu_metadata
